;; amdgpu-corpus repo=ROCm/rocFFT kind=compiled arch=gfx1030 opt=O3
	.text
	.amdgcn_target "amdgcn-amd-amdhsa--gfx1030"
	.amdhsa_code_object_version 6
	.protected	bluestein_single_back_len1440_dim1_sp_op_CI_CI ; -- Begin function bluestein_single_back_len1440_dim1_sp_op_CI_CI
	.globl	bluestein_single_back_len1440_dim1_sp_op_CI_CI
	.p2align	8
	.type	bluestein_single_back_len1440_dim1_sp_op_CI_CI,@function
bluestein_single_back_len1440_dim1_sp_op_CI_CI: ; @bluestein_single_back_len1440_dim1_sp_op_CI_CI
; %bb.0:
	s_load_dwordx4 s[12:15], s[4:5], 0x28
	v_mul_u32_u24_e32 v1, 0x2d9, v0
	v_mov_b32_e32 v127, 0
	s_mov_b32 s0, exec_lo
	v_lshrrev_b32_e32 v1, 16, v1
	v_add_nc_u32_e32 v126, s6, v1
	s_waitcnt lgkmcnt(0)
	v_cmpx_gt_u64_e64 s[12:13], v[126:127]
	s_cbranch_execz .LBB0_31
; %bb.1:
	s_clause 0x1
	s_load_dwordx4 s[8:11], s[4:5], 0x18
	s_load_dwordx2 s[6:7], s[4:5], 0x0
	v_mul_lo_u16 v1, 0x5a, v1
	v_sub_nc_u16 v30, v0, v1
	v_and_b32_e32 v127, 0xffff, v30
	v_lshlrev_b32_e32 v157, 3, v127
	v_or_b32_e32 v158, 0x480, v127
	s_waitcnt lgkmcnt(0)
	s_load_dwordx4 s[0:3], s[8:9], 0x0
	s_clause 0x1
	global_load_dwordx2 v[145:146], v157, s[6:7]
	global_load_dwordx2 v[143:144], v157, s[6:7] offset:1152
	v_lshlrev_b32_e32 v159, 3, v158
	s_waitcnt lgkmcnt(0)
	v_mad_u64_u32 v[0:1], null, s2, v126, 0
	v_mad_u64_u32 v[2:3], null, s0, v127, 0
	v_add_co_u32 v116, s2, s6, v157
	v_add_co_ci_u32_e64 v117, null, s7, 0, s2
	s_mul_hi_u32 s8, s0, 0x90
	v_add_co_u32 v124, vcc_lo, 0x800, v116
	v_mad_u64_u32 v[4:5], null, s3, v126, v[1:2]
	v_add_co_ci_u32_e32 v125, vcc_lo, 0, v117, vcc_lo
	v_add_co_u32 v120, vcc_lo, 0x1000, v116
	v_add_co_ci_u32_e32 v121, vcc_lo, 0, v117, vcc_lo
	v_mad_u64_u32 v[5:6], null, s1, v127, v[3:4]
	v_mov_b32_e32 v1, v4
	s_mul_i32 s3, s1, 0x90
	s_mul_i32 s2, s0, 0x90
	s_add_i32 s3, s8, s3
	s_clause 0x1
	global_load_dwordx2 v[139:140], v[124:125], off offset:1408
	global_load_dwordx2 v[137:138], v[120:121], off offset:512
	v_lshlrev_b64 v[0:1], 3, v[0:1]
	v_mov_b32_e32 v3, v5
	v_mad_u64_u32 v[4:5], null, s0, v158, 0
	s_lshl_b64 s[12:13], s[2:3], 3
	s_mov_b32 s8, 0
	v_lshlrev_b64 v[2:3], 3, v[2:3]
	v_add_co_u32 v14, vcc_lo, s14, v0
	v_add_co_ci_u32_e32 v15, vcc_lo, s15, v1, vcc_lo
	s_load_dwordx2 s[2:3], s[4:5], 0x38
	v_add_co_u32 v0, vcc_lo, v14, v2
	v_add_co_ci_u32_e32 v1, vcc_lo, v15, v3, vcc_lo
	v_mov_b32_e32 v2, v5
	v_add_co_u32 v6, vcc_lo, v0, s12
	v_add_co_ci_u32_e32 v7, vcc_lo, s13, v1, vcc_lo
	v_mad_u64_u32 v[2:3], null, s1, v158, v[2:3]
	v_add_co_u32 v8, vcc_lo, v6, s12
	v_add_co_ci_u32_e32 v9, vcc_lo, s13, v7, vcc_lo
	global_load_dwordx2 v[16:17], v[0:1], off
	v_add_co_u32 v10, vcc_lo, v8, s12
	v_add_co_ci_u32_e32 v11, vcc_lo, s13, v9, vcc_lo
	v_mov_b32_e32 v5, v2
	v_add_co_u32 v2, vcc_lo, v10, s12
	v_add_co_ci_u32_e32 v3, vcc_lo, s13, v11, vcc_lo
	v_lshlrev_b64 v[4:5], 3, v[4:5]
	v_add_co_u32 v12, vcc_lo, v2, s12
	v_add_co_ci_u32_e32 v13, vcc_lo, s13, v3, vcc_lo
	v_mov_b32_e32 v128, s8
	v_add_co_u32 v4, vcc_lo, v14, v4
	v_add_co_ci_u32_e32 v5, vcc_lo, v15, v5, vcc_lo
	v_add_co_u32 v14, vcc_lo, v12, s12
	v_add_co_ci_u32_e32 v15, vcc_lo, s13, v13, vcc_lo
	global_load_dwordx2 v[129:130], v159, s[6:7]
	s_clause 0x1
	global_load_dwordx2 v[20:21], v[4:5], off
	global_load_dwordx2 v[5:6], v[6:7], off
	v_add_co_u32 v18, vcc_lo, v14, s12
	v_add_co_ci_u32_e32 v19, vcc_lo, s13, v15, vcc_lo
	global_load_dwordx2 v[147:148], v[124:125], off offset:256
	s_clause 0x1
	global_load_dwordx2 v[7:8], v[8:9], off
	global_load_dwordx2 v[9:10], v[10:11], off
	v_add_co_u32 v122, vcc_lo, 0x1800, v116
	v_mad_u64_u32 v[0:1], null, 0x900, s0, v[18:19]
	v_add_co_ci_u32_e32 v123, vcc_lo, 0, v117, vcc_lo
	global_load_dwordx2 v[22:23], v[2:3], off
	s_clause 0x1
	global_load_dwordx2 v[141:142], v[120:121], off offset:1664
	global_load_dwordx2 v[133:134], v[122:123], off offset:768
	global_load_dwordx2 v[11:12], v[12:13], off
	global_load_dwordx2 v[13:14], v[14:15], off
	v_add_co_u32 v118, vcc_lo, 0x2800, v116
	v_mad_u64_u32 v[1:2], null, 0x900, s1, v[1:2]
	v_add_co_ci_u32_e32 v119, vcc_lo, 0, v117, vcc_lo
	global_load_dwordx2 v[18:19], v[18:19], off
	s_clause 0x1
	global_load_dwordx2 v[135:136], v[122:123], off offset:1920
	global_load_dwordx2 v[131:132], v[118:119], off offset:128
	global_load_dwordx2 v[24:25], v[0:1], off
	s_load_dwordx4 s[8:11], s[10:11], 0x0
	v_add_nc_u32_e32 v4, 0x800, v157
	v_add_nc_u32_e32 v3, 0x1000, v157
	;; [unrolled: 1-line block ×3, first 2 shown]
	v_cmp_gt_u16_e32 vcc_lo, 54, v30
	s_waitcnt vmcnt(15)
	v_mul_f32_e32 v15, v17, v146
	v_mul_f32_e32 v27, v16, v146
	v_fmac_f32_e32 v15, v16, v145
	v_fma_f32 v16, v17, v145, -v27
	s_waitcnt vmcnt(13)
	v_mul_f32_e32 v26, v21, v130
	s_waitcnt vmcnt(12)
	v_mul_f32_e32 v28, v6, v144
	v_mul_f32_e32 v29, v5, v144
	;; [unrolled: 1-line block ×3, first 2 shown]
	v_fmac_f32_e32 v26, v20, v129
	v_fmac_f32_e32 v28, v5, v143
	v_fma_f32 v29, v6, v143, -v29
	s_waitcnt vmcnt(10)
	v_mul_f32_e32 v6, v8, v148
	v_mul_f32_e32 v5, v7, v148
	s_waitcnt vmcnt(9)
	v_mul_f32_e32 v20, v10, v140
	v_fma_f32 v27, v21, v129, -v31
	ds_write2_b64 v157, v[15:16], v[28:29] offset1:144
	v_mul_f32_e32 v15, v9, v140
	v_fmac_f32_e32 v6, v7, v147
	v_fma_f32 v7, v8, v147, -v5
	s_waitcnt vmcnt(8)
	v_mul_f32_e32 v5, v22, v138
	s_waitcnt vmcnt(5)
	v_mul_f32_e32 v16, v11, v142
	v_fma_f32 v21, v10, v139, -v15
	v_mul_f32_e32 v10, v12, v142
	s_waitcnt vmcnt(4)
	v_mul_f32_e32 v15, v14, v134
	v_mul_f32_e32 v8, v23, v138
	v_fmac_f32_e32 v20, v9, v139
	v_fma_f32 v9, v23, v137, -v5
	v_mul_f32_e32 v5, v13, v134
	v_fmac_f32_e32 v10, v11, v141
	v_fma_f32 v11, v12, v141, -v16
	v_fmac_f32_e32 v15, v13, v133
	s_waitcnt vmcnt(2)
	v_mul_f32_e32 v12, v19, v136
	v_mul_f32_e32 v13, v18, v136
	v_fmac_f32_e32 v8, v22, v137
	s_waitcnt vmcnt(0)
	v_mul_f32_e32 v17, v25, v132
	v_mul_f32_e32 v22, v24, v132
	v_fma_f32 v16, v14, v133, -v5
	v_add_nc_u32_e32 v5, 0x2400, v157
	v_fmac_f32_e32 v12, v18, v135
	v_fma_f32 v13, v19, v135, -v13
	v_fmac_f32_e32 v17, v24, v131
	v_fma_f32 v18, v25, v131, -v22
	ds_write2_b64 v4, v[6:7], v[20:21] offset0:32 offset1:176
	ds_write2_b64 v3, v[8:9], v[10:11] offset0:64 offset1:208
	ds_write2_b64 v2, v[15:16], v[12:13] offset0:96 offset1:240
	ds_write2_b64 v5, v[26:27], v[17:18] offset1:144
	s_and_saveexec_b32 s14, vcc_lo
	s_cbranch_execz .LBB0_3
; %bb.2:
	v_mad_u64_u32 v[0:1], null, 0xffffda50, s0, v[0:1]
	s_mulk_i32 s1, 0xda50
	s_clause 0x1
	global_load_dwordx2 v[8:9], v[116:117], off offset:720
	global_load_dwordx2 v[10:11], v[116:117], off offset:1872
	s_sub_i32 s0, s1, s0
	s_clause 0x4
	global_load_dwordx2 v[14:15], v[124:125], off offset:976
	global_load_dwordx2 v[16:17], v[120:121], off offset:80
	;; [unrolled: 1-line block ×5, first 2 shown]
	v_add_nc_u32_e32 v46, 0xa00, v157
	v_add_nc_u32_e32 v1, s0, v1
	v_add_co_u32 v6, s0, v0, s12
	v_add_nc_u32_e32 v47, 0x1400, v157
	v_add_nc_u32_e32 v48, 0x1c00, v157
	v_add_co_ci_u32_e64 v7, s0, s13, v1, s0
	v_add_co_u32 v12, s0, v6, s12
	global_load_dwordx2 v[0:1], v[0:1], off
	v_add_co_ci_u32_e64 v13, s0, s13, v7, s0
	v_add_co_u32 v22, s0, v12, s12
	global_load_dwordx2 v[6:7], v[6:7], off
	;; [unrolled: 3-line block ×3, first 2 shown]
	v_add_co_ci_u32_e64 v25, s0, s13, v23, s0
	v_add_co_u32 v26, s0, v24, s12
	v_add_co_ci_u32_e64 v27, s0, s13, v25, s0
	v_add_co_u32 v28, s0, v26, s12
	;; [unrolled: 2-line block ×4, first 2 shown]
	v_add_co_ci_u32_e64 v37, s0, 0, v117, s0
	global_load_dwordx2 v[22:23], v[22:23], off
	global_load_dwordx2 v[24:25], v[24:25], off
	;; [unrolled: 1-line block ×5, first 2 shown]
	v_add_co_u32 v32, s0, v32, s12
	v_add_co_ci_u32_e64 v33, s0, s13, v33, s0
	global_load_dwordx2 v[38:39], v[36:37], off offset:592
	v_add_co_u32 v40, s0, v32, s12
	v_add_co_ci_u32_e64 v41, s0, s13, v33, s0
	global_load_dwordx2 v[32:33], v[32:33], off
	s_clause 0x1
	global_load_dwordx2 v[36:37], v[36:37], off offset:1744
	global_load_dwordx2 v[42:43], v[118:119], off offset:848
	global_load_dwordx2 v[40:41], v[40:41], off
	s_waitcnt vmcnt(12)
	v_mul_f32_e32 v44, v1, v9
	v_mul_f32_e32 v45, v0, v9
	s_waitcnt vmcnt(11)
	v_mul_f32_e32 v9, v7, v11
	v_mul_f32_e32 v11, v6, v11
	v_fmac_f32_e32 v44, v0, v8
	v_fma_f32 v45, v1, v8, -v45
	s_waitcnt vmcnt(10)
	v_mul_f32_e32 v0, v13, v15
	v_mul_f32_e32 v1, v12, v15
	v_fmac_f32_e32 v9, v6, v10
	v_fma_f32 v10, v7, v10, -v11
	v_fmac_f32_e32 v0, v12, v14
	v_fma_f32 v1, v13, v14, -v1
	s_waitcnt vmcnt(9)
	v_mul_f32_e32 v6, v23, v17
	s_waitcnt vmcnt(8)
	v_mul_f32_e32 v8, v24, v19
	v_mul_f32_e32 v7, v22, v17
	s_waitcnt vmcnt(7)
	v_mul_f32_e32 v13, v27, v21
	v_mul_f32_e32 v11, v25, v19
	v_fmac_f32_e32 v6, v22, v16
	v_fma_f32 v12, v25, v18, -v8
	v_mul_f32_e32 v8, v26, v21
	v_fma_f32 v7, v23, v16, -v7
	s_waitcnt vmcnt(6)
	v_mul_f32_e32 v15, v29, v31
	v_mul_f32_e32 v16, v28, v31
	s_waitcnt vmcnt(4)
	v_mul_f32_e32 v17, v35, v39
	v_fma_f32 v14, v27, v20, -v8
	v_mul_f32_e32 v8, v34, v39
	v_fmac_f32_e32 v13, v26, v20
	s_waitcnt vmcnt(2)
	v_mul_f32_e32 v19, v33, v37
	v_mul_f32_e32 v20, v32, v37
	s_waitcnt vmcnt(0)
	v_mul_f32_e32 v21, v41, v43
	v_mul_f32_e32 v22, v40, v43
	v_fmac_f32_e32 v11, v24, v18
	v_fmac_f32_e32 v15, v28, v30
	v_fma_f32 v16, v29, v30, -v16
	v_fmac_f32_e32 v17, v34, v38
	v_fma_f32 v18, v35, v38, -v8
	;; [unrolled: 2-line block ×4, first 2 shown]
	ds_write2_b64 v157, v[44:45], v[9:10] offset0:90 offset1:234
	ds_write2_b64 v46, v[0:1], v[6:7] offset0:58 offset1:202
	;; [unrolled: 1-line block ×5, first 2 shown]
.LBB0_3:
	s_or_b32 exec_lo, exec_lo, s14
	s_waitcnt lgkmcnt(0)
	s_barrier
	buffer_gl0_inv
	ds_read2_b64 v[8:11], v157 offset1:144
	ds_read2_b64 v[28:31], v4 offset0:32 offset1:176
	ds_read2_b64 v[32:35], v3 offset0:64 offset1:208
	;; [unrolled: 1-line block ×3, first 2 shown]
	ds_read2_b64 v[24:27], v5 offset1:144
                                        ; implicit-def: $vgpr6
                                        ; implicit-def: $vgpr0
                                        ; implicit-def: $vgpr12
                                        ; implicit-def: $vgpr18
                                        ; implicit-def: $vgpr22
	s_and_saveexec_b32 s0, vcc_lo
	s_cbranch_execz .LBB0_5
; %bb.4:
	v_add_nc_u32_e32 v0, 0xa00, v157
	v_add_nc_u32_e32 v1, 0x1400, v157
	v_add_nc_u32_e32 v2, 0x1c00, v157
	v_add_nc_u32_e32 v12, 0x2400, v157
	ds_read2_b64 v[20:23], v157 offset0:90 offset1:234
	ds_read2_b64 v[16:19], v0 offset0:58 offset1:202
	;; [unrolled: 1-line block ×5, first 2 shown]
.LBB0_5:
	s_or_b32 exec_lo, exec_lo, s0
	s_waitcnt lgkmcnt(1)
	v_add_f32_e32 v40, v32, v36
	v_add_f32_e32 v41, v8, v28
	s_waitcnt lgkmcnt(0)
	v_sub_f32_e32 v42, v29, v25
	v_add_f32_e32 v46, v28, v24
	v_sub_f32_e32 v43, v33, v37
	v_fma_f32 v44, -0.5, v40, v8
	v_add_f32_e32 v41, v41, v32
	v_sub_f32_e32 v40, v28, v32
	v_sub_f32_e32 v45, v24, v36
	v_fma_f32 v8, -0.5, v46, v8
	v_fmamk_f32 v56, v42, 0x3f737871, v44
	v_add_f32_e32 v41, v41, v36
	v_fmac_f32_e32 v44, 0xbf737871, v42
	v_add_f32_e32 v48, v9, v29
	v_add_f32_e32 v49, v33, v37
	;; [unrolled: 1-line block ×3, first 2 shown]
	v_fmac_f32_e32 v56, 0x3f167918, v43
	v_add_f32_e32 v41, v41, v24
	v_fmamk_f32 v58, v43, 0xbf737871, v8
	v_sub_f32_e32 v47, v36, v24
	v_fmac_f32_e32 v44, 0xbf167918, v43
	v_fmac_f32_e32 v8, 0x3f737871, v43
	v_add_f32_e32 v43, v48, v33
	v_fma_f32 v64, -0.5, v49, v9
	v_sub_f32_e32 v24, v28, v24
	v_fmac_f32_e32 v56, 0x3e9e377a, v45
	v_sub_f32_e32 v46, v32, v28
	v_fmac_f32_e32 v58, 0x3f167918, v42
	v_fmac_f32_e32 v44, 0x3e9e377a, v45
	;; [unrolled: 1-line block ×3, first 2 shown]
	v_add_f32_e32 v28, v43, v37
	v_fmamk_f32 v42, v24, 0xbf737871, v64
	v_add_f32_e32 v43, v29, v25
	v_sub_f32_e32 v32, v32, v36
	v_sub_f32_e32 v36, v29, v33
	;; [unrolled: 1-line block ×3, first 2 shown]
	v_fmac_f32_e32 v64, 0x3f737871, v24
	v_fma_f32 v9, -0.5, v43, v9
	v_add_f32_e32 v28, v28, v25
	v_fmac_f32_e32 v42, 0xbf167918, v32
	v_add_f32_e32 v36, v36, v45
	v_sub_f32_e32 v29, v33, v29
	v_sub_f32_e32 v25, v37, v25
	v_fmac_f32_e32 v64, 0x3f167918, v32
	v_add_f32_e32 v33, v34, v38
	v_add_f32_e32 v46, v46, v47
	v_fmamk_f32 v43, v32, 0x3f737871, v9
	v_fmac_f32_e32 v42, 0x3e9e377a, v36
	v_add_f32_e32 v25, v29, v25
	v_fmac_f32_e32 v9, 0xbf737871, v32
	v_add_f32_e32 v29, v10, v30
	v_fma_f32 v32, -0.5, v33, v10
	v_sub_f32_e32 v33, v31, v27
	v_fmac_f32_e32 v64, 0x3e9e377a, v36
	v_add_f32_e32 v36, v30, v26
	v_fmac_f32_e32 v58, 0x3e9e377a, v46
	v_fmac_f32_e32 v8, 0x3e9e377a, v46
	v_fmac_f32_e32 v43, 0xbf167918, v24
	v_fmac_f32_e32 v9, 0x3f167918, v24
	v_add_f32_e32 v24, v29, v34
	v_fmamk_f32 v29, v33, 0x3f737871, v32
	v_sub_f32_e32 v37, v35, v39
	v_sub_f32_e32 v45, v30, v34
	;; [unrolled: 1-line block ×3, first 2 shown]
	v_fma_f32 v10, -0.5, v36, v10
	v_fmac_f32_e32 v32, 0xbf737871, v33
	v_fmac_f32_e32 v43, 0x3e9e377a, v25
	;; [unrolled: 1-line block ×4, first 2 shown]
	v_add_f32_e32 v25, v45, v46
	v_fmamk_f32 v36, v37, 0xbf737871, v10
	v_fmac_f32_e32 v32, 0xbf167918, v37
	v_fmac_f32_e32 v10, 0x3f737871, v37
	v_add_f32_e32 v24, v24, v38
	v_fmac_f32_e32 v29, 0x3e9e377a, v25
	v_fmac_f32_e32 v36, 0x3f167918, v33
	;; [unrolled: 1-line block ×3, first 2 shown]
	v_add_f32_e32 v25, v11, v31
	v_add_f32_e32 v37, v35, v39
	v_fmac_f32_e32 v10, 0xbf167918, v33
	v_add_f32_e32 v33, v31, v27
	v_sub_f32_e32 v45, v34, v30
	v_sub_f32_e32 v46, v38, v26
	v_add_f32_e32 v24, v24, v26
	v_add_f32_e32 v25, v25, v35
	v_fma_f32 v37, -0.5, v37, v11
	v_sub_f32_e32 v26, v30, v26
	v_sub_f32_e32 v30, v34, v38
	v_fmac_f32_e32 v11, -0.5, v33
	v_add_f32_e32 v45, v45, v46
	v_add_f32_e32 v25, v25, v39
	v_fmamk_f32 v33, v26, 0xbf737871, v37
	v_sub_f32_e32 v34, v31, v35
	v_fmamk_f32 v38, v30, 0x3f737871, v11
	v_sub_f32_e32 v31, v35, v31
	v_sub_f32_e32 v35, v39, v27
	;; [unrolled: 1-line block ×3, first 2 shown]
	v_fmac_f32_e32 v11, 0xbf737871, v30
	v_fmac_f32_e32 v37, 0x3f737871, v26
	;; [unrolled: 1-line block ×3, first 2 shown]
	v_add_f32_e32 v31, v31, v35
	v_add_f32_e32 v34, v34, v39
	v_fmac_f32_e32 v11, 0x3f167918, v26
	v_fmac_f32_e32 v37, 0x3f167918, v30
	;; [unrolled: 1-line block ×4, first 2 shown]
	v_mul_f32_e32 v30, 0x3e9e377a, v10
	v_fmac_f32_e32 v11, 0x3e9e377a, v31
	v_fmac_f32_e32 v37, 0x3e9e377a, v34
	;; [unrolled: 1-line block ×4, first 2 shown]
	v_add_f32_e32 v25, v25, v27
	v_fma_f32 v30, 0x3f737871, v11, -v30
	v_mul_f32_e32 v11, 0x3e9e377a, v11
	v_mul_f32_e32 v35, 0x3f4f1bbd, v37
	v_fmac_f32_e32 v33, 0x3e9e377a, v34
	v_mul_f32_e32 v26, 0x3f4f1bbd, v29
	v_mul_f32_e32 v27, 0x3f737871, v38
	;; [unrolled: 1-line block ×3, first 2 shown]
	v_fma_f32 v10, 0xbf737871, v10, -v11
	v_fma_f32 v11, 0xbf167918, v32, -v35
	v_add_f32_e32 v32, v0, v4
	v_fmac_f32_e32 v26, 0x3f167918, v33
	v_fmac_f32_e32 v27, 0x3e9e377a, v36
	v_add_f32_e32 v45, v41, v24
	v_mul_f32_e32 v29, 0xbf167918, v29
	v_sub_f32_e32 v55, v41, v24
	v_fma_f32 v24, -0.5, v32, v20
	v_sub_f32_e32 v32, v17, v13
	v_add_f32_e32 v47, v56, v26
	v_add_f32_e32 v49, v58, v27
	;; [unrolled: 1-line block ×3, first 2 shown]
	v_fmac_f32_e32 v29, 0x3f4f1bbd, v33
	v_add_f32_e32 v46, v28, v25
	v_add_f32_e32 v52, v9, v10
	v_sub_f32_e32 v57, v56, v26
	v_sub_f32_e32 v59, v58, v27
	;; [unrolled: 1-line block ×4, first 2 shown]
	v_fmamk_f32 v25, v32, 0x3f737871, v24
	v_sub_f32_e32 v8, v5, v1
	v_sub_f32_e32 v26, v16, v4
	;; [unrolled: 1-line block ×3, first 2 shown]
	v_add_f32_e32 v28, v12, v16
	v_sub_f32_e32 v62, v9, v10
	v_fmac_f32_e32 v24, 0xbf737871, v32
	v_add_f32_e32 v9, v1, v5
	v_fma_f32 v31, 0x3f167918, v37, -v31
	v_add_f32_e32 v48, v42, v29
	v_add_f32_e32 v54, v64, v11
	v_sub_f32_e32 v58, v42, v29
	v_fmac_f32_e32 v25, 0x3f167918, v8
	v_add_f32_e32 v29, v27, v26
	v_fma_f32 v26, -0.5, v28, v20
	v_sub_f32_e32 v64, v64, v11
	v_fmac_f32_e32 v24, 0xbf167918, v8
	v_sub_f32_e32 v10, v4, v16
	v_sub_f32_e32 v11, v0, v12
	v_fma_f32 v28, -0.5, v9, v21
	v_sub_f32_e32 v9, v16, v12
	v_add_f32_e32 v53, v44, v31
	v_sub_f32_e32 v63, v44, v31
	v_fmac_f32_e32 v25, 0x3e9e377a, v29
	v_fmamk_f32 v27, v8, 0xbf737871, v26
	v_fmac_f32_e32 v24, 0x3e9e377a, v29
	v_add_f32_e32 v10, v11, v10
	v_fmac_f32_e32 v26, 0x3f737871, v8
	v_fmamk_f32 v29, v9, 0xbf737871, v28
	v_sub_f32_e32 v8, v4, v0
	v_sub_f32_e32 v11, v17, v5
	;; [unrolled: 1-line block ×3, first 2 shown]
	v_fmac_f32_e32 v28, 0x3f737871, v9
	v_add_f32_e32 v31, v13, v17
	v_mul_f32_e32 v34, 0xbf737871, v36
	v_fmac_f32_e32 v29, 0xbf167918, v8
	v_add_f32_e32 v11, v30, v11
	v_fmac_f32_e32 v28, 0x3f167918, v8
	v_fma_f32 v30, -0.5, v31, v21
	v_fmac_f32_e32 v34, 0x3e9e377a, v38
	v_fmac_f32_e32 v27, 0x3f167918, v32
	;; [unrolled: 1-line block ×5, first 2 shown]
	v_fmamk_f32 v31, v8, 0x3f737871, v30
	v_sub_f32_e32 v11, v5, v17
	v_sub_f32_e32 v32, v1, v13
	v_fmac_f32_e32 v30, 0xbf737871, v8
	v_add_f32_e32 v50, v43, v34
	v_sub_f32_e32 v60, v43, v34
	v_fmac_f32_e32 v31, 0xbf167918, v9
	v_add_f32_e32 v11, v32, v11
	v_fmac_f32_e32 v30, 0x3f167918, v9
	v_sub_f32_e32 v33, v18, v6
	v_sub_f32_e32 v34, v14, v2
	v_fmac_f32_e32 v27, 0x3e9e377a, v10
	v_fmac_f32_e32 v26, 0x3e9e377a, v10
	v_add_f32_e32 v10, v6, v2
	v_fmac_f32_e32 v31, 0x3e9e377a, v11
	v_fmac_f32_e32 v30, 0x3e9e377a, v11
	v_add_f32_e32 v11, v34, v33
	v_sub_f32_e32 v33, v6, v18
	v_sub_f32_e32 v34, v2, v14
	v_fma_f32 v8, -0.5, v10, v22
	v_sub_f32_e32 v10, v19, v15
	v_add_f32_e32 v9, v14, v18
	v_sub_f32_e32 v32, v7, v3
	v_add_f32_e32 v33, v34, v33
	v_add_f32_e32 v34, v15, v19
	v_fmamk_f32 v35, v10, 0x3f737871, v8
	v_fma_f32 v9, -0.5, v9, v22
	v_fmac_f32_e32 v8, 0xbf737871, v10
	v_add_f32_e32 v37, v7, v3
	v_sub_f32_e32 v39, v6, v2
	v_fma_f32 v43, -0.5, v34, v23
	v_fmac_f32_e32 v35, 0x3f167918, v32
	v_fmamk_f32 v36, v32, 0xbf737871, v9
	v_fmac_f32_e32 v8, 0xbf167918, v32
	v_fma_f32 v37, -0.5, v37, v23
	v_sub_f32_e32 v38, v18, v14
	v_fmac_f32_e32 v9, 0x3f737871, v32
	v_sub_f32_e32 v32, v19, v7
	v_sub_f32_e32 v34, v15, v3
	v_fmamk_f32 v65, v39, 0x3f737871, v43
	v_sub_f32_e32 v41, v7, v19
	v_sub_f32_e32 v42, v3, v15
	v_fmamk_f32 v44, v38, 0xbf737871, v37
	v_add_f32_e32 v34, v34, v32
	v_fmac_f32_e32 v43, 0xbf737871, v39
	v_fmac_f32_e32 v65, 0xbf167918, v38
	v_add_f32_e32 v32, v42, v41
	v_fmac_f32_e32 v9, 0xbf167918, v10
	v_fmac_f32_e32 v37, 0x3f737871, v38
	;; [unrolled: 1-line block ×8, first 2 shown]
	s_load_dwordx2 s[4:5], s[4:5], 0x8
	v_fmac_f32_e32 v35, 0x3e9e377a, v11
	v_fmac_f32_e32 v36, 0x3e9e377a, v33
	v_fmac_f32_e32 v44, 0x3e9e377a, v34
	v_fmac_f32_e32 v43, 0x3e9e377a, v32
	v_mul_f32_e32 v33, 0x3f737871, v65
	v_mul_f32_e32 v10, 0x3e9e377a, v9
	v_fmac_f32_e32 v8, 0x3e9e377a, v11
	v_fmac_f32_e32 v37, 0x3e9e377a, v34
	v_mul_f32_e32 v32, 0x3f167918, v44
	v_fmac_f32_e32 v33, 0x3e9e377a, v36
	v_fma_f32 v34, 0x3f737871, v43, -v10
	v_mul_f32_e32 v10, 0x3f4f1bbd, v8
	v_mul_f32_e32 v41, 0xbf167918, v35
	v_mul_f32_e32 v42, 0xbf737871, v36
	v_mul_f32_e32 v11, 0x3e9e377a, v43
	v_mul_f32_e32 v36, 0x3f4f1bbd, v37
	v_add_co_u32 v166, s0, 0x5a, v127
	v_fmac_f32_e32 v32, 0x3f4f1bbd, v35
	v_fma_f32 v35, 0x3f167918, v37, -v10
	v_fmac_f32_e32 v41, 0x3f4f1bbd, v44
	v_fmac_f32_e32 v42, 0x3e9e377a, v65
	v_fma_f32 v43, 0xbf737871, v9, -v11
	v_fma_f32 v44, 0xbf167918, v8, -v36
	v_mul_lo_u16 v11, v127, 10
	v_mov_b32_e32 v65, 3
	v_add_co_ci_u32_e64 v40, null, 0, 0, s0
	v_sub_f32_e32 v36, v25, v32
	v_sub_f32_e32 v38, v27, v33
	;; [unrolled: 1-line block ×7, first 2 shown]
	v_lshlrev_b32_sdwa v162, v65, v11 dst_sel:DWORD dst_unused:UNUSED_PAD src0_sel:DWORD src1_sel:WORD_0
	v_sub_f32_e32 v11, v28, v44
	v_mul_u32_u24_e32 v161, 10, v166
	s_waitcnt lgkmcnt(0)
	s_barrier
	buffer_gl0_inv
	ds_write_b128 v162, v[45:48]
	ds_write_b128 v162, v[49:52] offset:16
	ds_write_b128 v162, v[53:56] offset:32
	;; [unrolled: 1-line block ×4, first 2 shown]
	s_and_saveexec_b32 s0, vcc_lo
	s_cbranch_execz .LBB0_7
; %bb.6:
	v_add_f32_e32 v17, v17, v21
	v_add_f32_e32 v19, v19, v23
	;; [unrolled: 1-line block ×8, first 2 shown]
	v_lshlrev_b32_e32 v16, 3, v161
	v_add_f32_e32 v1, v1, v5
	v_add_f32_e32 v3, v3, v7
	v_add_f32_e32 v0, v0, v4
	v_add_f32_e32 v2, v2, v6
	v_add_f32_e32 v7, v30, v43
	v_add_f32_e32 v4, v13, v1
	v_add_f32_e32 v6, v15, v3
	v_add_f32_e32 v0, v12, v0
	v_add_f32_e32 v12, v14, v2
	v_add_f32_e32 v15, v29, v41
	v_add_f32_e32 v14, v25, v32
	v_add_f32_e32 v13, v6, v4
	v_add_f32_e32 v5, v31, v42
	v_sub_f32_e32 v2, v0, v12
	v_add_f32_e32 v12, v12, v0
	v_sub_f32_e32 v3, v4, v6
	v_add_f32_e32 v6, v26, v34
	v_add_f32_e32 v4, v27, v33
	;; [unrolled: 1-line block ×4, first 2 shown]
	ds_write_b128 v16, v[12:15]
	ds_write_b128 v16, v[4:7] offset:16
	ds_write_b128 v16, v[0:3] offset:32
	;; [unrolled: 1-line block ×4, first 2 shown]
.LBB0_7:
	s_or_b32 exec_lo, exec_lo, s0
	v_and_b32_e32 v0, 0xff, v127
	s_waitcnt lgkmcnt(0)
	s_barrier
	buffer_gl0_inv
	v_mov_b32_e32 v50, 0xa0
	v_mul_lo_u16 v0, 0xcd, v0
	v_add_nc_u32_e32 v72, 0x400, v157
	v_add_nc_u32_e32 v73, 0x800, v157
	;; [unrolled: 1-line block ×4, first 2 shown]
	v_lshrrev_b16 v49, 11, v0
	v_add_nc_u32_e32 v57, 0x1800, v157
	v_add_nc_u32_e32 v75, 0x2000, v157
	;; [unrolled: 1-line block ×4, first 2 shown]
	v_mul_lo_u16 v0, v49, 10
	v_mul_u32_u24_sdwa v54, v49, v50 dst_sel:DWORD dst_unused:UNUSED_PAD src0_sel:WORD_0 src1_sel:DWORD
	v_cmp_gt_u16_e64 s0, 30, v127
	v_sub_nc_u16 v0, v127, v0
	v_and_b32_e32 v53, 0xff, v0
	v_mad_u64_u32 v[32:33], null, 0x78, v53, s[4:5]
	v_or_b32_e32 v69, v54, v53
	s_clause 0x7
	global_load_dwordx4 v[28:31], v[32:33], off
	global_load_dwordx4 v[20:23], v[32:33], off offset:16
	global_load_dwordx4 v[12:15], v[32:33], off offset:32
	;; [unrolled: 1-line block ×6, first 2 shown]
	global_load_dwordx2 v[149:150], v[32:33], off offset:112
	ds_read2_b64 v[32:35], v157 offset1:90
	ds_read2_b64 v[41:44], v72 offset0:52 offset1:142
	ds_read2_b64 v[45:48], v73 offset0:104 offset1:194
	;; [unrolled: 1-line block ×7, first 2 shown]
	v_lshlrev_b32_e32 v160, 3, v69
	s_waitcnt vmcnt(0) lgkmcnt(0)
	s_barrier
	buffer_gl0_inv
	v_mul_f32_e32 v69, v35, v29
	v_mul_f32_e32 v70, v34, v29
	;; [unrolled: 1-line block ×30, first 2 shown]
	v_fma_f32 v34, v34, v28, -v69
	v_fmac_f32_e32 v70, v35, v28
	v_fma_f32 v35, v41, v30, -v71
	v_fmac_f32_e32 v78, v42, v30
	;; [unrolled: 2-line block ×15, first 2 shown]
	v_sub_f32_e32 v46, v32, v46
	v_sub_f32_e32 v54, v33, v90
	;; [unrolled: 1-line block ×16, first 2 shown]
	v_fma_f32 v32, v32, 2.0, -v46
	v_fma_f32 v33, v33, 2.0, -v54
	;; [unrolled: 1-line block ×16, first 2 shown]
	v_sub_f32_e32 v55, v46, v55
	v_add_f32_e32 v50, v54, v50
	v_sub_f32_e32 v57, v48, v57
	v_add_f32_e32 v52, v56, v52
	v_sub_f32_e32 v59, v47, v59
	v_add_f32_e32 v51, v58, v51
	v_sub_f32_e32 v61, v49, v61
	v_add_f32_e32 v53, v60, v53
	v_sub_f32_e32 v42, v32, v42
	v_sub_f32_e32 v62, v33, v62
	v_fma_f32 v46, v46, 2.0, -v55
	v_fma_f32 v54, v54, 2.0, -v50
	v_sub_f32_e32 v44, v35, v44
	v_sub_f32_e32 v64, v63, v64
	v_fma_f32 v48, v48, 2.0, -v57
	v_fma_f32 v56, v56, 2.0, -v52
	v_sub_f32_e32 v43, v34, v43
	v_sub_f32_e32 v66, v65, v66
	v_fma_f32 v47, v47, 2.0, -v59
	v_fma_f32 v58, v58, 2.0, -v51
	v_sub_f32_e32 v45, v41, v45
	v_sub_f32_e32 v68, v67, v68
	v_fma_f32 v49, v49, 2.0, -v61
	v_fma_f32 v60, v60, 2.0, -v53
	v_fmamk_f32 v70, v52, 0x3f3504f3, v50
	v_fmamk_f32 v69, v57, 0x3f3504f3, v55
	;; [unrolled: 1-line block ×4, first 2 shown]
	v_fma_f32 v79, v32, 2.0, -v42
	v_fma_f32 v80, v33, 2.0, -v62
	;; [unrolled: 1-line block ×8, first 2 shown]
	v_fmamk_f32 v65, v48, 0xbf3504f3, v46
	v_fmamk_f32 v67, v56, 0xbf3504f3, v54
	v_fmac_f32_e32 v70, 0x3f3504f3, v57
	v_fmamk_f32 v57, v49, 0xbf3504f3, v47
	v_fmamk_f32 v82, v60, 0xbf3504f3, v58
	v_sub_f32_e32 v64, v42, v64
	v_add_f32_e32 v81, v62, v44
	v_fmac_f32_e32 v69, 0xbf3504f3, v52
	v_sub_f32_e32 v52, v43, v68
	v_add_f32_e32 v68, v66, v45
	v_fmac_f32_e32 v71, 0xbf3504f3, v53
	v_fmac_f32_e32 v78, 0x3f3504f3, v61
	v_sub_f32_e32 v53, v79, v32
	v_sub_f32_e32 v61, v80, v33
	v_fmac_f32_e32 v65, 0xbf3504f3, v56
	v_fmac_f32_e32 v67, 0x3f3504f3, v48
	v_sub_f32_e32 v44, v34, v41
	v_sub_f32_e32 v45, v35, v63
	v_fmac_f32_e32 v57, 0xbf3504f3, v60
	v_fmac_f32_e32 v82, 0x3f3504f3, v49
	v_fma_f32 v83, v42, 2.0, -v64
	v_fma_f32 v62, v62, 2.0, -v81
	;; [unrolled: 1-line block ×8, first 2 shown]
	v_fmamk_f32 v32, v52, 0x3f3504f3, v64
	v_fmamk_f32 v33, v68, 0x3f3504f3, v81
	;; [unrolled: 1-line block ×4, first 2 shown]
	v_fma_f32 v60, v79, 2.0, -v53
	v_fma_f32 v63, v80, 2.0, -v61
	;; [unrolled: 1-line block ×8, first 2 shown]
	v_fmamk_f32 v34, v55, 0xbf3504f3, v83
	v_fmamk_f32 v35, v56, 0xbf3504f3, v62
	;; [unrolled: 1-line block ×4, first 2 shown]
	v_sub_f32_e32 v43, v53, v45
	v_fmamk_f32 v45, v57, 0x3ec3ef15, v65
	v_fmamk_f32 v46, v82, 0x3ec3ef15, v67
	v_fmac_f32_e32 v32, 0xbf3504f3, v68
	v_fmac_f32_e32 v33, 0x3f3504f3, v52
	;; [unrolled: 1-line block ×4, first 2 shown]
	v_sub_f32_e32 v47, v60, v48
	v_sub_f32_e32 v48, v63, v49
	v_fmamk_f32 v49, v80, 0xbf6c835e, v66
	v_fmamk_f32 v50, v58, 0xbf6c835e, v79
	v_fmac_f32_e32 v34, 0xbf3504f3, v56
	v_fmac_f32_e32 v35, 0x3f3504f3, v55
	;; [unrolled: 1-line block ×4, first 2 shown]
	v_add_f32_e32 v44, v61, v44
	v_fmac_f32_e32 v45, 0xbf6c835e, v82
	v_fmac_f32_e32 v46, 0x3f6c835e, v57
	v_fma_f32 v51, v53, 2.0, -v43
	v_fma_f32 v53, v64, 2.0, -v32
	;; [unrolled: 1-line block ×5, first 2 shown]
	v_fmac_f32_e32 v49, 0xbec3ef15, v58
	v_fmac_f32_e32 v50, 0x3ec3ef15, v80
	ds_write2_b64 v160, v[32:33], v[92:93] offset0:140 offset1:150
	v_fma_f32 v32, v60, 2.0, -v47
	v_fma_f32 v57, v83, 2.0, -v34
	;; [unrolled: 1-line block ×9, first 2 shown]
	ds_write2_b64 v160, v[53:54], v[55:56] offset0:60 offset1:70
	ds_write2_b64 v160, v[34:35], v[41:42] offset0:100 offset1:110
	v_fma_f32 v34, v66, 2.0, -v49
	v_fma_f32 v35, v79, 2.0, -v50
	ds_write2_b64 v160, v[43:44], v[45:46] offset0:120 offset1:130
	ds_write2_b64 v160, v[57:58], v[59:60] offset0:20 offset1:30
	;; [unrolled: 1-line block ×4, first 2 shown]
	ds_write2_b64 v160, v[32:33], v[34:35] offset1:10
	s_waitcnt lgkmcnt(0)
	s_barrier
	buffer_gl0_inv
	ds_read2_b64 v[68:71], v157 offset1:90
	ds_read2_b64 v[60:63], v73 offset0:104 offset1:224
	ds_read2_b64 v[80:83], v77 offset0:64 offset1:154
	;; [unrolled: 1-line block ×6, first 2 shown]
	ds_read_b64 v[88:89], v157 offset:10560
	s_and_saveexec_b32 s1, s0
	s_cbranch_execz .LBB0_9
; %bb.8:
	ds_read_b64 v[92:93], v157 offset:3600
	ds_read_b64 v[36:37], v157 offset:7440
	;; [unrolled: 1-line block ×3, first 2 shown]
.LBB0_9:
	s_or_b32 exec_lo, exec_lo, s1
	v_add_co_u32 v34, s1, 0xffffffba, v127
	v_add_co_ci_u32_e64 v35, null, 0, -1, s1
	v_cmp_gt_u16_e64 s1, 0x46, v127
	v_lshlrev_b64 v[32:33], 4, v[127:128]
	v_mov_b32_e32 v48, 0xcccd
	v_mov_b32_e32 v90, 3
	v_cndmask_b32_e64 v95, v35, v40, s1
	v_cndmask_b32_e64 v94, v34, v166, s1
	v_add_co_u32 v153, s1, s4, v32
	v_add_co_ci_u32_e64 v154, s1, s5, v33, s1
	v_lshlrev_b64 v[44:45], 4, v[94:95]
	s_clause 0x1
	global_load_dwordx4 v[40:43], v[153:154], off offset:1200
	global_load_dwordx4 v[32:35], v[153:154], off offset:1520
	v_add_co_u32 v44, s1, s4, v44
	v_add_co_ci_u32_e64 v45, s1, s5, v45, s1
	v_add_co_u32 v151, s1, 0x10e, v127
	v_add_co_ci_u32_e64 v152, null, 0, 0, s1
	v_add_co_u32 v114, s1, 0x168, v127
	v_add_co_ci_u32_e64 v115, null, 0, 0, s1
	v_add_co_u32 v167, s1, 0x1c2, v127
	v_mul_u32_u24_sdwa v49, v151, v48 dst_sel:DWORD dst_unused:UNUSED_PAD src0_sel:WORD_0 src1_sel:DWORD
	v_mul_u32_u24_sdwa v50, v114, v48 dst_sel:DWORD dst_unused:UNUSED_PAD src0_sel:WORD_0 src1_sel:DWORD
	global_load_dwordx4 v[44:47], v[44:45], off offset:1200
	v_mul_u32_u24_sdwa v48, v167, v48 dst_sel:DWORD dst_unused:UNUSED_PAD src0_sel:WORD_0 src1_sel:DWORD
	v_add_co_ci_u32_e64 v168, null, 0, 0, s1
	v_lshrrev_b32_e32 v91, 23, v49
	v_lshrrev_b32_e32 v49, 23, v50
	;; [unrolled: 1-line block ×3, first 2 shown]
	v_mul_lo_u16 v50, 0xa0, v91
	v_mul_lo_u16 v49, 0xa0, v49
	;; [unrolled: 1-line block ×3, first 2 shown]
	v_sub_nc_u16 v95, v151, v50
	v_sub_nc_u16 v96, v114, v49
	v_sub_nc_u16 v128, v167, v48
	v_lshlrev_b16 v48, 4, v95
	v_lshlrev_b16 v49, 4, v96
	;; [unrolled: 1-line block ×3, first 2 shown]
	v_lshlrev_b32_sdwa v163, v90, v96 dst_sel:DWORD dst_unused:UNUSED_PAD src0_sel:DWORD src1_sel:WORD_0
	v_mad_u16 v91, 0x1e0, v91, v95
	v_and_b32_e32 v48, 0xffff, v48
	v_and_b32_e32 v51, 0xffff, v49
	;; [unrolled: 1-line block ×3, first 2 shown]
	v_add_nc_u32_e32 v95, 0xe00, v157
	v_lshlrev_b32_sdwa v164, v90, v91 dst_sel:DWORD dst_unused:UNUSED_PAD src0_sel:DWORD src1_sel:WORD_0
	v_add_co_u32 v48, s1, s4, v48
	v_add_co_ci_u32_e64 v49, null, s5, 0, s1
	v_add_co_u32 v50, s1, s4, v51
	v_add_co_ci_u32_e64 v51, null, s5, 0, s1
	global_load_dwordx4 v[56:59], v[48:49], off offset:1200
	v_add_co_u32 v48, s1, s4, v52
	v_add_co_ci_u32_e64 v49, null, s5, 0, s1
	s_clause 0x1
	global_load_dwordx4 v[52:55], v[50:51], off offset:1200
	global_load_dwordx4 v[48:51], v[48:49], off offset:1200
	v_cmp_lt_u16_e64 s1, 0x45, v127
	s_waitcnt vmcnt(0) lgkmcnt(0)
	s_barrier
	buffer_gl0_inv
	v_add_nc_u32_e32 v91, 0x1c00, v163
	v_cndmask_b32_e64 v97, 0, 0x1e0, s1
	v_add_lshl_u32 v165, v94, v97, 3
	v_mul_f32_e32 v94, v63, v41
	v_mul_f32_e32 v96, v62, v41
	;; [unrolled: 1-line block ×8, first 2 shown]
	v_fma_f32 v62, v62, v40, -v94
	v_fmac_f32_e32 v96, v63, v40
	v_fma_f32 v63, v80, v42, -v97
	v_fmac_f32_e32 v98, v81, v42
	;; [unrolled: 2-line block ×4, first 2 shown]
	v_add_f32_e32 v97, v62, v63
	v_sub_f32_e32 v99, v96, v98
	v_add_f32_e32 v101, v69, v96
	v_add_f32_e32 v96, v96, v98
	v_mul_f32_e32 v73, v85, v45
	v_mul_f32_e32 v86, v84, v45
	;; [unrolled: 1-line block ×4, first 2 shown]
	v_add_f32_e32 v94, v68, v62
	v_sub_f32_e32 v103, v62, v63
	v_fma_f32 v84, v84, v44, -v73
	v_fmac_f32_e32 v86, v85, v44
	v_fma_f32 v85, v82, v46, -v81
	v_fmac_f32_e32 v87, v83, v46
	v_fma_f32 v68, -0.5, v97, v68
	v_fma_f32 v69, -0.5, v96, v69
	v_add_f32_e32 v104, v64, v80
	v_add_f32_e32 v105, v80, v72
	v_sub_f32_e32 v106, v100, v102
	v_add_f32_e32 v107, v65, v100
	v_add_f32_e32 v100, v100, v102
	v_sub_f32_e32 v108, v80, v72
	v_add_f32_e32 v62, v94, v63
	v_add_f32_e32 v63, v101, v98
	v_fmamk_f32 v80, v99, 0x3f5db3d7, v68
	v_fmamk_f32 v81, v103, 0xbf5db3d7, v69
	v_add_f32_e32 v94, v70, v84
	v_add_f32_e32 v96, v84, v85
	v_sub_f32_e32 v97, v86, v87
	v_add_f32_e32 v98, v71, v86
	v_add_f32_e32 v86, v86, v87
	v_fmac_f32_e32 v68, 0xbf5db3d7, v99
	v_fmac_f32_e32 v69, 0x3f5db3d7, v103
	v_add_f32_e32 v73, v107, v102
	v_fma_f32 v65, -0.5, v100, v65
	v_sub_f32_e32 v99, v84, v85
	v_add_f32_e32 v84, v94, v85
	v_fma_f32 v70, -0.5, v96, v70
	v_add_f32_e32 v85, v98, v87
	v_fmac_f32_e32 v71, -0.5, v86
	ds_write2_b64 v157, v[62:63], v[80:81] offset1:160
	ds_write_b64 v157, v[68:69] offset:2560
	v_mul_f32_e32 v68, v77, v57
	v_mul_f32_e32 v69, v76, v57
	;; [unrolled: 1-line block ×4, first 2 shown]
	v_fma_f32 v64, -0.5, v105, v64
	v_fmamk_f32 v62, v97, 0x3f5db3d7, v70
	v_mul_f32_e32 v86, v79, v53
	v_mul_f32_e32 v94, v89, v55
	;; [unrolled: 1-line block ×8, first 2 shown]
	v_fmamk_f32 v63, v99, 0xbf5db3d7, v71
	v_fma_f32 v68, v76, v56, -v68
	v_fmac_f32_e32 v69, v77, v56
	v_fma_f32 v74, v74, v58, -v80
	v_fmac_f32_e32 v81, v75, v58
	v_fma_f32 v75, v78, v52, -v86
	v_fma_f32 v76, v88, v54, -v94
	;; [unrolled: 1-line block ×3, first 2 shown]
	v_fmac_f32_e32 v100, v37, v48
	v_fma_f32 v77, v38, v50, -v101
	v_fmac_f32_e32 v102, v39, v50
	v_fmac_f32_e32 v70, 0xbf5db3d7, v97
	v_fmac_f32_e32 v71, 0x3f5db3d7, v99
	v_add_f32_e32 v72, v104, v72
	v_fmamk_f32 v82, v106, 0x3f5db3d7, v64
	v_fmamk_f32 v83, v108, 0xbf5db3d7, v65
	v_fmac_f32_e32 v87, v79, v52
	v_fmac_f32_e32 v96, v89, v54
	v_fmac_f32_e32 v64, 0xbf5db3d7, v106
	v_fmac_f32_e32 v65, 0x3f5db3d7, v108
	ds_write2_b64 v165, v[84:85], v[62:63] offset1:160
	ds_write_b64 v165, v[70:71] offset:2560
	ds_write2_b64 v95, v[72:73], v[82:83] offset0:52 offset1:212
	ds_write_b64 v157, v[64:65] offset:6560
	v_add_f32_e32 v37, v66, v68
	v_add_f32_e32 v38, v68, v74
	;; [unrolled: 1-line block ×3, first 2 shown]
	v_sub_f32_e32 v64, v68, v74
	v_add_f32_e32 v65, v60, v75
	v_add_f32_e32 v68, v75, v76
	v_sub_f32_e32 v72, v75, v76
	v_add_f32_e32 v75, v36, v77
	v_add_f32_e32 v80, v100, v102
	;; [unrolled: 1-line block ×3, first 2 shown]
	v_sub_f32_e32 v63, v69, v81
	v_add_f32_e32 v39, v67, v69
	v_add_f32_e32 v73, v92, v36
	v_sub_f32_e32 v78, v100, v102
	v_add_f32_e32 v79, v93, v100
	v_sub_f32_e32 v84, v36, v77
	v_fma_f32 v66, -0.5, v38, v66
	v_fmac_f32_e32 v67, -0.5, v62
	v_fmac_f32_e32 v92, -0.5, v75
	;; [unrolled: 1-line block ×3, first 2 shown]
	v_sub_f32_e32 v69, v87, v96
	v_add_f32_e32 v70, v61, v87
	v_fma_f32 v60, -0.5, v68, v60
	v_fmac_f32_e32 v61, -0.5, v71
	v_add_f32_e32 v36, v37, v74
	v_add_f32_e32 v37, v39, v81
	;; [unrolled: 1-line block ×4, first 2 shown]
	v_fmamk_f32 v62, v63, 0x3f5db3d7, v66
	v_fmac_f32_e32 v66, 0xbf5db3d7, v63
	v_fmamk_f32 v63, v64, 0xbf5db3d7, v67
	v_fmamk_f32 v80, v78, 0x3f5db3d7, v92
	v_fmac_f32_e32 v92, 0xbf5db3d7, v78
	v_fmamk_f32 v81, v84, 0xbf5db3d7, v93
	v_fmac_f32_e32 v93, 0x3f5db3d7, v84
	v_fmac_f32_e32 v67, 0x3f5db3d7, v64
	v_add_f32_e32 v38, v65, v76
	v_add_f32_e32 v39, v70, v96
	v_fmamk_f32 v64, v69, 0x3f5db3d7, v60
	v_fmamk_f32 v65, v72, 0xbf5db3d7, v61
	v_fmac_f32_e32 v60, 0xbf5db3d7, v69
	v_fmac_f32_e32 v61, 0x3f5db3d7, v72
	ds_write2_b64 v164, v[36:37], v[62:63] offset1:160
	ds_write_b64 v164, v[66:67] offset:2560
	ds_write2_b64 v91, v[38:39], v[64:65] offset0:64 offset1:224
	ds_write_b64 v163, v[60:61] offset:10240
	s_and_saveexec_b32 s1, s0
	s_cbranch_execz .LBB0_11
; %bb.10:
	v_lshlrev_b32_sdwa v36, v90, v128 dst_sel:DWORD dst_unused:UNUSED_PAD src0_sel:DWORD src1_sel:WORD_0
	v_add_nc_u32_e32 v37, 0x1c00, v36
	ds_write2_b64 v37, v[82:83], v[80:81] offset0:64 offset1:224
	ds_write_b64 v36, v[92:93] offset:10240
.LBB0_11:
	s_or_b32 exec_lo, exec_lo, s1
	v_add_nc_u32_e32 v36, 0x800, v157
	s_waitcnt lgkmcnt(0)
	s_barrier
	buffer_gl0_inv
	ds_read2_b64 v[94:97], v157 offset1:90
	ds_read2_b64 v[84:87], v36 offset0:104 offset1:224
	v_add_nc_u32_e32 v36, 0x1c00, v157
	v_add_nc_u32_e32 v172, 0x1000, v157
	;; [unrolled: 1-line block ×5, first 2 shown]
	ds_read2_b64 v[110:113], v36 offset0:64 offset1:154
	ds_read2_b64 v[106:109], v172 offset0:58 offset1:148
	;; [unrolled: 1-line block ×5, first 2 shown]
	ds_read_b64 v[155:156], v157 offset:10560
	s_and_saveexec_b32 s1, s0
	s_cbranch_execz .LBB0_13
; %bb.12:
	ds_read_b64 v[82:83], v157 offset:3600
	ds_read_b64 v[80:81], v157 offset:7440
	;; [unrolled: 1-line block ×3, first 2 shown]
.LBB0_13:
	s_or_b32 exec_lo, exec_lo, s1
	v_lshlrev_b32_e32 v38, 4, v166
	v_add_co_u32 v36, s1, 0x800, v153
	v_lshl_add_u32 v39, v127, 4, 0xb40
	v_add_co_ci_u32_e64 v37, s1, 0, v154, s1
	v_add_co_u32 v38, s1, s4, v38
	v_add_co_ci_u32_e64 v60, null, s5, 0, s1
	v_add_co_u32 v61, s1, s4, v39
	v_add_co_ci_u32_e64 v62, null, s5, 0, s1
	v_add_co_u32 v38, s1, 0x800, v38
	v_add_co_ci_u32_e64 v39, s1, 0, v60, s1
	v_add_co_u32 v60, s1, 0x800, v61
	v_add_co_ci_u32_e64 v61, s1, 0, v62, s1
	global_load_dwordx4 v[68:71], v[36:37], off offset:1712
	v_lshlrev_b64 v[36:37], 4, v[151:152]
	s_clause 0x1
	global_load_dwordx4 v[72:75], v[38:39], off offset:1712
	global_load_dwordx4 v[60:63], v[60:61], off offset:1712
	v_lshlrev_b64 v[38:39], 4, v[114:115]
	v_add_co_u32 v36, s1, s4, v36
	v_add_co_ci_u32_e64 v37, s1, s5, v37, s1
	v_add_co_u32 v38, s1, s4, v38
	v_add_co_ci_u32_e64 v39, s1, s5, v39, s1
	;; [unrolled: 2-line block ×4, first 2 shown]
	s_clause 0x1
	global_load_dwordx4 v[76:79], v[36:37], off offset:1712
	global_load_dwordx4 v[64:67], v[38:39], off offset:1712
	v_add_co_u32 v36, s1, 0xffffffe2, v127
	v_add_co_ci_u32_e64 v37, null, 0, -1, s1
	v_cndmask_b32_e64 v36, v36, v167, s0
	v_cndmask_b32_e64 v37, v37, v168, s0
	v_lshlrev_b64 v[36:37], 4, v[36:37]
	v_add_co_u32 v36, s1, s4, v36
	v_add_co_ci_u32_e64 v37, s1, s5, v37, s1
	v_add_co_u32 v36, s1, 0x800, v36
	v_add_co_ci_u32_e64 v37, s1, 0, v37, s1
	global_load_dwordx4 v[36:39], v[36:37], off offset:1712
	s_waitcnt vmcnt(5) lgkmcnt(6)
	v_mul_f32_e32 v114, v87, v69
	v_mul_f32_e32 v115, v86, v69
	s_waitcnt lgkmcnt(5)
	v_mul_f32_e32 v151, v111, v71
	v_mul_f32_e32 v152, v110, v71
	s_waitcnt vmcnt(3) lgkmcnt(4)
	v_mul_f32_e32 v153, v109, v61
	v_fma_f32 v86, v86, v68, -v114
	v_fmac_f32_e32 v115, v87, v68
	v_fma_f32 v87, v110, v70, -v151
	v_fmac_f32_e32 v152, v111, v70
	v_mul_f32_e32 v110, v107, v73
	v_mul_f32_e32 v111, v106, v73
	;; [unrolled: 1-line block ×4, first 2 shown]
	s_waitcnt lgkmcnt(2)
	v_mul_f32_e32 v167, v102, v63
	v_mul_f32_e32 v114, v113, v75
	;; [unrolled: 1-line block ×3, first 2 shown]
	v_add_f32_e32 v168, v94, v86
	v_add_f32_e32 v173, v86, v87
	v_sub_f32_e32 v174, v115, v152
	v_add_f32_e32 v175, v95, v115
	v_add_f32_e32 v115, v115, v152
	v_fma_f32 v106, v106, v72, -v110
	v_fmac_f32_e32 v111, v107, v72
	v_fmac_f32_e32 v151, v113, v74
	s_waitcnt vmcnt(2) lgkmcnt(1)
	v_mul_f32_e32 v178, v98, v77
	v_mul_f32_e32 v180, v104, v79
	s_waitcnt vmcnt(1)
	v_mul_f32_e32 v181, v101, v65
	v_mul_f32_e32 v182, v100, v65
	s_waitcnt lgkmcnt(0)
	v_mul_f32_e32 v183, v156, v67
	v_mul_f32_e32 v184, v155, v67
	v_fma_f32 v108, v108, v60, -v153
	v_fmac_f32_e32 v154, v109, v60
	v_fmac_f32_e32 v167, v103, v62
	v_sub_f32_e32 v176, v86, v87
	v_mul_f32_e32 v177, v99, v77
	v_mul_f32_e32 v179, v105, v79
	v_fma_f32 v107, v112, v74, -v114
	v_fma_f32 v102, v102, v62, -v166
	v_add_f32_e32 v86, v168, v87
	v_fma_f32 v94, -0.5, v173, v94
	v_add_f32_e32 v87, v175, v152
	v_fma_f32 v95, -0.5, v115, v95
	v_fmac_f32_e32 v178, v99, v76
	v_fmac_f32_e32 v180, v105, v78
	v_fma_f32 v100, v100, v64, -v181
	v_fmac_f32_e32 v182, v101, v64
	v_fma_f32 v110, v155, v66, -v183
	v_fmac_f32_e32 v184, v156, v66
	v_add_f32_e32 v101, v96, v106
	v_sub_f32_e32 v112, v111, v151
	v_add_f32_e32 v105, v97, v111
	v_add_f32_e32 v111, v111, v151
	;; [unrolled: 1-line block ×3, first 2 shown]
	v_sub_f32_e32 v115, v154, v167
	v_add_f32_e32 v152, v89, v154
	v_add_f32_e32 v153, v154, v167
	s_waitcnt vmcnt(0)
	v_mul_f32_e32 v154, v81, v37
	v_mul_f32_e32 v155, v80, v37
	;; [unrolled: 1-line block ×4, first 2 shown]
	v_fma_f32 v103, v98, v76, -v177
	v_fma_f32 v109, v104, v78, -v179
	v_fmamk_f32 v98, v174, 0x3f5db3d7, v94
	v_fmac_f32_e32 v94, 0xbf5db3d7, v174
	v_fmamk_f32 v99, v176, 0xbf5db3d7, v95
	v_fmac_f32_e32 v95, 0x3f5db3d7, v176
	v_add_f32_e32 v104, v106, v107
	v_add_f32_e32 v114, v108, v102
	v_sub_f32_e32 v108, v108, v102
	v_sub_f32_e32 v174, v178, v180
	v_add_f32_e32 v175, v91, v178
	v_add_f32_e32 v176, v178, v180
	;; [unrolled: 1-line block ×4, first 2 shown]
	v_sub_f32_e32 v185, v100, v110
	v_add_f32_e32 v100, v101, v107
	v_add_f32_e32 v101, v105, v151
	v_fmac_f32_e32 v97, -0.5, v111
	v_add_f32_e32 v102, v113, v102
	v_fma_f32 v105, -0.5, v153, v89
	v_fma_f32 v111, v80, v36, -v154
	v_fmac_f32_e32 v155, v81, v36
	v_fma_f32 v113, v92, v38, -v156
	v_fmac_f32_e32 v166, v93, v38
	v_sub_f32_e32 v106, v106, v107
	v_add_f32_e32 v168, v90, v103
	v_add_f32_e32 v173, v103, v109
	v_sub_f32_e32 v181, v182, v184
	v_add_f32_e32 v183, v85, v182
	v_add_f32_e32 v182, v182, v184
	v_fma_f32 v96, -0.5, v104, v96
	v_fma_f32 v104, -0.5, v114, v88
	ds_write_b64 v157, v[98:99] offset:3840
	ds_write_b64 v157, v[94:95] offset:7680
	v_fmamk_f32 v107, v108, 0xbf5db3d7, v105
	v_fmac_f32_e32 v105, 0x3f5db3d7, v108
	ds_write2_b64 v157, v[86:87], v[100:101] offset1:90
	v_add_f32_e32 v87, v111, v113
	v_add_f32_e32 v108, v155, v166
	v_sub_f32_e32 v177, v103, v109
	v_add_f32_e32 v98, v168, v109
	v_fma_f32 v90, -0.5, v173, v90
	v_fmac_f32_e32 v91, -0.5, v176
	v_fma_f32 v84, -0.5, v179, v84
	v_fmac_f32_e32 v85, -0.5, v182
	v_fmamk_f32 v80, v112, 0x3f5db3d7, v96
	v_fmac_f32_e32 v96, 0xbf5db3d7, v112
	v_fmamk_f32 v81, v106, 0xbf5db3d7, v97
	v_fmac_f32_e32 v97, 0x3f5db3d7, v106
	v_fmamk_f32 v106, v115, 0x3f5db3d7, v104
	v_add_f32_e32 v86, v82, v111
	v_sub_f32_e32 v100, v155, v166
	v_add_f32_e32 v101, v83, v155
	v_sub_f32_e32 v109, v111, v113
	v_fmac_f32_e32 v82, -0.5, v87
	v_fmac_f32_e32 v83, -0.5, v108
	v_add_f32_e32 v103, v152, v167
	v_add_f32_e32 v99, v175, v180
	;; [unrolled: 1-line block ×4, first 2 shown]
	v_fmamk_f32 v88, v174, 0x3f5db3d7, v90
	v_fmac_f32_e32 v90, 0xbf5db3d7, v174
	v_fmamk_f32 v89, v177, 0xbf5db3d7, v91
	v_fmac_f32_e32 v91, 0x3f5db3d7, v177
	;; [unrolled: 2-line block ×4, first 2 shown]
	ds_write_b64 v157, v[96:97] offset:8400
	ds_write2_b64 v172, v[80:81], v[106:107] offset0:58 offset1:148
	v_add_f32_e32 v86, v86, v113
	v_add_f32_e32 v87, v101, v166
	v_fmamk_f32 v80, v100, 0x3f5db3d7, v82
	v_fmac_f32_e32 v82, 0xbf5db3d7, v100
	v_fmamk_f32 v81, v109, 0xbf5db3d7, v83
	v_fmac_f32_e32 v83, 0x3f5db3d7, v109
	v_fmac_f32_e32 v104, 0xbf5db3d7, v115
	ds_write2_b64 v171, v[102:103], v[98:99] offset0:52 offset1:142
	ds_write2_b64 v170, v[104:105], v[90:91] offset0:116 offset1:206
	ds_write_b64 v157, v[92:93] offset:2880
	ds_write2_b64 v169, v[88:89], v[94:95] offset0:110 offset1:200
	ds_write_b64 v157, v[84:85] offset:10560
	s_and_saveexec_b32 s1, s0
	s_cbranch_execz .LBB0_15
; %bb.14:
	ds_write_b64 v157, v[86:87] offset:3600
	ds_write_b64 v157, v[80:81] offset:7440
	;; [unrolled: 1-line block ×3, first 2 shown]
.LBB0_15:
	s_or_b32 exec_lo, exec_lo, s1
	v_lshlrev_b32_e32 v96, 3, v127
	s_add_u32 s4, s6, 0x2d00
	s_addc_u32 s5, s7, 0
	s_waitcnt lgkmcnt(0)
	s_barrier
	buffer_gl0_inv
	s_clause 0x1
	global_load_dwordx2 v[110:111], v96, s[4:5]
	global_load_dwordx2 v[112:113], v96, s[4:5] offset:1152
	v_add_co_u32 v96, s1, s4, v96
	v_add_co_ci_u32_e64 v97, null, s5, 0, s1
	v_add_co_u32 v98, s1, 0x800, v96
	v_add_co_ci_u32_e64 v99, s1, 0, v97, s1
	v_add_co_u32 v100, s1, 0x1000, v96
	v_add_co_ci_u32_e64 v101, s1, 0, v97, s1
	;; [unrolled: 2-line block ×4, first 2 shown]
	s_clause 0x7
	global_load_dwordx2 v[114:115], v[98:99], off offset:256
	global_load_dwordx2 v[174:175], v[98:99], off offset:1408
	;; [unrolled: 1-line block ×6, first 2 shown]
	global_load_dwordx2 v[184:185], v159, s[4:5]
	global_load_dwordx2 v[186:187], v[104:105], off offset:128
	ds_read2_b64 v[106:109], v157 offset1:144
	s_waitcnt vmcnt(9) lgkmcnt(0)
	v_mul_f32_e32 v151, v107, v111
	v_mul_f32_e32 v152, v106, v111
	s_waitcnt vmcnt(8)
	v_mul_f32_e32 v153, v109, v113
	v_mul_f32_e32 v111, v108, v113
	v_fma_f32 v151, v106, v110, -v151
	v_fmac_f32_e32 v152, v107, v110
	v_fma_f32 v110, v108, v112, -v153
	v_fmac_f32_e32 v111, v109, v112
	v_add_nc_u32_e32 v108, 0x800, v157
	v_add_nc_u32_e32 v106, 0x1000, v157
	;; [unrolled: 1-line block ×3, first 2 shown]
	ds_write2_b64 v157, v[151:152], v[110:111] offset1:144
	v_add_nc_u32_e32 v151, 0x2400, v157
	ds_read2_b64 v[109:112], v108 offset0:32 offset1:176
	ds_read2_b64 v[152:155], v106 offset0:64 offset1:208
	;; [unrolled: 1-line block ×3, first 2 shown]
	ds_read2_b64 v[170:173], v151 offset1:144
	s_waitcnt vmcnt(7) lgkmcnt(3)
	v_mul_f32_e32 v159, v110, v115
	v_mul_f32_e32 v188, v109, v115
	s_waitcnt vmcnt(6)
	v_mul_f32_e32 v189, v112, v175
	v_mul_f32_e32 v115, v111, v175
	s_waitcnt vmcnt(5) lgkmcnt(2)
	v_mul_f32_e32 v190, v153, v177
	v_mul_f32_e32 v113, v152, v177
	s_waitcnt vmcnt(4)
	v_mul_f32_e32 v191, v155, v179
	v_mul_f32_e32 v175, v154, v179
	;; [unrolled: 6-line block ×4, first 2 shown]
	v_fma_f32 v187, v109, v114, -v159
	v_fmac_f32_e32 v188, v110, v114
	v_fma_f32 v114, v111, v174, -v189
	v_fmac_f32_e32 v115, v112, v174
	;; [unrolled: 2-line block ×8, first 2 shown]
	ds_write2_b64 v108, v[187:188], v[114:115] offset0:32 offset1:176
	ds_write2_b64 v106, v[112:113], v[174:175] offset0:64 offset1:208
	;; [unrolled: 1-line block ×3, first 2 shown]
	ds_write2_b64 v151, v[178:179], v[180:181] offset1:144
	s_and_saveexec_b32 s4, vcc_lo
	s_cbranch_execz .LBB0_17
; %bb.16:
	s_clause 0x7
	global_load_dwordx2 v[113:114], v[96:97], off offset:720
	global_load_dwordx2 v[170:171], v[96:97], off offset:1872
	;; [unrolled: 1-line block ×8, first 2 shown]
	v_add_co_u32 v96, s1, 0x2000, v96
	v_add_co_ci_u32_e64 v97, s1, 0, v97, s1
	v_add_nc_u32_e32 v156, 0xa00, v157
	v_add_nc_u32_e32 v159, 0x1400, v157
	s_clause 0x1
	global_load_dwordx2 v[182:183], v[96:97], off offset:592
	global_load_dwordx2 v[184:185], v[96:97], off offset:1744
	ds_read2_b64 v[96:99], v157 offset0:90 offset1:234
	v_add_nc_u32_e32 v188, 0x1c00, v157
	ds_read2_b64 v[100:103], v156 offset0:58 offset1:202
	ds_read2_b64 v[109:112], v159 offset0:26 offset1:170
	;; [unrolled: 1-line block ×4, first 2 shown]
	s_waitcnt vmcnt(9) lgkmcnt(4)
	v_mul_f32_e32 v186, v97, v114
	v_mul_f32_e32 v115, v96, v114
	s_waitcnt vmcnt(8)
	v_mul_f32_e32 v189, v99, v171
	v_mul_f32_e32 v187, v98, v171
	s_waitcnt vmcnt(7) lgkmcnt(3)
	v_mul_f32_e32 v190, v101, v173
	v_mul_f32_e32 v171, v100, v173
	s_waitcnt vmcnt(6)
	v_mul_f32_e32 v191, v103, v175
	v_mul_f32_e32 v173, v102, v175
	;; [unrolled: 6-line block ×3, first 2 shown]
	s_waitcnt vmcnt(3) lgkmcnt(1)
	v_mul_f32_e32 v194, v153, v181
	v_mul_f32_e32 v179, v152, v181
	v_fma_f32 v114, v96, v113, -v186
	v_fmac_f32_e32 v115, v97, v113
	s_waitcnt vmcnt(1)
	v_mul_f32_e32 v96, v155, v183
	v_mul_f32_e32 v97, v154, v183
	s_waitcnt lgkmcnt(0)
	v_mul_f32_e32 v195, v169, v105
	v_mul_f32_e32 v181, v168, v105
	v_fma_f32 v186, v98, v170, -v189
	v_fmac_f32_e32 v187, v99, v170
	s_waitcnt vmcnt(0)
	v_mul_f32_e32 v98, v167, v185
	v_mul_f32_e32 v99, v166, v185
	v_fma_f32 v170, v100, v172, -v190
	v_fmac_f32_e32 v171, v101, v172
	v_fma_f32 v172, v102, v174, -v191
	v_fmac_f32_e32 v173, v103, v174
	;; [unrolled: 2-line block ×8, first 2 shown]
	ds_write2_b64 v157, v[114:115], v[186:187] offset0:90 offset1:234
	ds_write2_b64 v156, v[170:171], v[172:173] offset0:58 offset1:202
	;; [unrolled: 1-line block ×5, first 2 shown]
.LBB0_17:
	s_or_b32 exec_lo, exec_lo, s4
	s_waitcnt lgkmcnt(0)
	s_barrier
	buffer_gl0_inv
	ds_read2_b64 v[96:99], v157 offset1:144
	ds_read2_b64 v[112:115], v108 offset0:32 offset1:176
	ds_read2_b64 v[108:111], v106 offset0:64 offset1:208
	;; [unrolled: 1-line block ×3, first 2 shown]
	ds_read2_b64 v[100:103], v151 offset1:144
	s_and_saveexec_b32 s1, vcc_lo
	s_cbranch_execz .LBB0_19
; %bb.18:
	v_add_nc_u32_e32 v8, 0xa00, v157
	v_add_nc_u32_e32 v9, 0x1400, v157
	;; [unrolled: 1-line block ×4, first 2 shown]
	ds_read2_b64 v[88:91], v157 offset0:90 offset1:234
	ds_read2_b64 v[92:95], v8 offset0:58 offset1:202
	;; [unrolled: 1-line block ×5, first 2 shown]
.LBB0_19:
	s_or_b32 exec_lo, exec_lo, s1
	s_waitcnt lgkmcnt(1)
	v_add_f32_e32 v151, v108, v104
	v_add_f32_e32 v152, v96, v112
	s_waitcnt lgkmcnt(0)
	v_sub_f32_e32 v153, v113, v101
	v_add_f32_e32 v159, v112, v100
	v_sub_f32_e32 v154, v109, v105
	v_fma_f32 v151, -0.5, v151, v96
	v_add_f32_e32 v152, v152, v108
	v_add_f32_e32 v168, v97, v113
	v_fma_f32 v96, -0.5, v159, v96
	v_sub_f32_e32 v155, v112, v108
	v_fmamk_f32 v167, v153, 0xbf737871, v151
	v_fmac_f32_e32 v151, 0x3f737871, v153
	v_sub_f32_e32 v156, v100, v104
	v_add_f32_e32 v152, v152, v104
	v_fmamk_f32 v159, v154, 0x3f737871, v96
	v_fmac_f32_e32 v167, 0xbf167918, v154
	v_fmac_f32_e32 v151, 0x3f167918, v154
	v_add_f32_e32 v169, v109, v105
	v_fmac_f32_e32 v96, 0xbf737871, v154
	v_add_f32_e32 v154, v168, v109
	v_sub_f32_e32 v166, v108, v112
	v_add_f32_e32 v155, v155, v156
	v_sub_f32_e32 v156, v104, v100
	v_add_f32_e32 v152, v152, v100
	v_fma_f32 v194, -0.5, v169, v97
	v_sub_f32_e32 v100, v112, v100
	v_add_f32_e32 v112, v154, v105
	v_add_f32_e32 v154, v113, v101
	v_fmac_f32_e32 v167, 0x3e9e377a, v155
	v_fmac_f32_e32 v159, 0xbf167918, v153
	;; [unrolled: 1-line block ×4, first 2 shown]
	v_fmamk_f32 v153, v100, 0x3f737871, v194
	v_sub_f32_e32 v104, v108, v104
	v_sub_f32_e32 v155, v101, v105
	v_fma_f32 v97, -0.5, v154, v97
	v_add_f32_e32 v112, v112, v101
	v_fmac_f32_e32 v194, 0xbf737871, v100
	v_sub_f32_e32 v101, v105, v101
	v_add_f32_e32 v105, v98, v114
	v_sub_f32_e32 v108, v113, v109
	v_fmac_f32_e32 v153, 0x3f167918, v104
	v_fmamk_f32 v154, v104, 0xbf737871, v97
	v_sub_f32_e32 v109, v109, v113
	v_fmac_f32_e32 v194, 0xbf167918, v104
	v_fmac_f32_e32 v97, 0x3f737871, v104
	v_add_f32_e32 v104, v105, v110
	v_add_f32_e32 v105, v110, v106
	;; [unrolled: 1-line block ×3, first 2 shown]
	v_fmac_f32_e32 v154, 0x3f167918, v100
	v_add_f32_e32 v101, v109, v101
	v_fmac_f32_e32 v97, 0xbf167918, v100
	v_add_f32_e32 v100, v104, v106
	v_fma_f32 v104, -0.5, v105, v98
	v_add_f32_e32 v105, v114, v102
	v_fmac_f32_e32 v153, 0x3e9e377a, v108
	v_fmac_f32_e32 v194, 0x3e9e377a, v108
	;; [unrolled: 1-line block ×3, first 2 shown]
	v_sub_f32_e32 v108, v115, v103
	v_fmac_f32_e32 v97, 0x3e9e377a, v101
	v_sub_f32_e32 v101, v111, v107
	v_fma_f32 v98, -0.5, v105, v98
	v_add_f32_e32 v156, v166, v156
	v_fmamk_f32 v105, v108, 0xbf737871, v104
	v_sub_f32_e32 v109, v114, v110
	v_sub_f32_e32 v113, v102, v106
	v_fmac_f32_e32 v104, 0x3f737871, v108
	v_fmamk_f32 v155, v101, 0x3f737871, v98
	v_fmac_f32_e32 v98, 0xbf737871, v101
	v_fmac_f32_e32 v159, 0x3e9e377a, v156
	;; [unrolled: 1-line block ×3, first 2 shown]
	v_sub_f32_e32 v156, v110, v114
	v_sub_f32_e32 v166, v106, v102
	v_fmac_f32_e32 v105, 0xbf167918, v101
	v_add_f32_e32 v109, v109, v113
	v_fmac_f32_e32 v104, 0x3f167918, v101
	v_fmac_f32_e32 v155, 0xbf167918, v108
	v_add_f32_e32 v101, v111, v107
	v_fmac_f32_e32 v98, 0x3f167918, v108
	v_add_f32_e32 v108, v115, v103
	v_add_f32_e32 v100, v100, v102
	;; [unrolled: 1-line block ×3, first 2 shown]
	v_fmac_f32_e32 v105, 0x3e9e377a, v109
	v_fmac_f32_e32 v104, 0x3e9e377a, v109
	v_fma_f32 v101, -0.5, v101, v99
	v_sub_f32_e32 v102, v114, v102
	v_add_f32_e32 v109, v99, v115
	v_sub_f32_e32 v106, v110, v106
	v_fmac_f32_e32 v99, -0.5, v108
	v_fmac_f32_e32 v155, 0x3e9e377a, v113
	v_fmac_f32_e32 v98, 0x3e9e377a, v113
	v_fmamk_f32 v108, v102, 0x3f737871, v101
	v_sub_f32_e32 v110, v115, v111
	v_sub_f32_e32 v113, v103, v107
	v_fmamk_f32 v114, v106, 0xbf737871, v99
	v_sub_f32_e32 v115, v111, v115
	v_sub_f32_e32 v156, v107, v103
	v_fmac_f32_e32 v99, 0x3f737871, v106
	v_fmac_f32_e32 v108, 0x3f167918, v106
	v_add_f32_e32 v110, v110, v113
	v_fmac_f32_e32 v101, 0xbf737871, v102
	v_add_f32_e32 v113, v115, v156
	v_fmac_f32_e32 v99, 0xbf167918, v102
	v_fmac_f32_e32 v114, 0x3f167918, v102
	v_add_f32_e32 v102, v109, v111
	v_fmac_f32_e32 v108, 0x3e9e377a, v110
	v_fmac_f32_e32 v101, 0xbf167918, v106
	;; [unrolled: 1-line block ×4, first 2 shown]
	v_add_f32_e32 v102, v102, v107
	v_mul_f32_e32 v106, 0xbf167918, v108
	v_fmac_f32_e32 v101, 0x3e9e377a, v110
	v_mul_f32_e32 v109, 0xbf737871, v99
	v_mul_f32_e32 v99, 0xbe9e377a, v99
	v_add_f32_e32 v102, v102, v103
	v_fmac_f32_e32 v106, 0x3f4f1bbd, v105
	v_mul_f32_e32 v103, 0xbf167918, v101
	v_fmac_f32_e32 v109, 0xbe9e377a, v98
	v_mul_f32_e32 v105, 0x3f167918, v105
	v_mul_f32_e32 v111, 0x3e9e377a, v114
	v_fmac_f32_e32 v99, 0x3f737871, v98
	v_add_f32_e32 v98, v80, v84
	v_fmac_f32_e32 v103, 0xbf4f1bbd, v104
	v_mul_f32_e32 v195, 0xbf4f1bbd, v101
	v_fmac_f32_e32 v105, 0x3f4f1bbd, v108
	v_fmac_f32_e32 v111, 0x3f737871, v155
	v_add_f32_e32 v182, v97, v99
	v_fma_f32 v101, -0.5, v98, v88
	v_sub_f32_e32 v192, v97, v99
	v_sub_f32_e32 v97, v92, v84
	;; [unrolled: 1-line block ×3, first 2 shown]
	v_add_f32_e32 v108, v86, v82
	v_add_f32_e32 v181, v96, v109
	v_add_f32_e32 v183, v151, v103
	v_add_f32_e32 v178, v153, v105
	v_add_f32_e32 v180, v154, v111
	v_sub_f32_e32 v191, v96, v109
	v_sub_f32_e32 v193, v151, v103
	v_sub_f32_e32 v188, v153, v105
	v_add_f32_e32 v96, v8, v92
	v_sub_f32_e32 v190, v154, v111
	v_add_f32_e32 v153, v98, v97
	v_sub_f32_e32 v98, v93, v85
	v_sub_f32_e32 v105, v9, v81
	v_fma_f32 v151, -0.5, v108, v90
	v_add_f32_e32 v108, v87, v83
	v_add_f32_e32 v111, v11, v95
	v_mul_f32_e32 v107, 0xbf737871, v114
	v_add_f32_e32 v177, v167, v106
	v_sub_f32_e32 v187, v167, v106
	v_fma_f32 v103, -0.5, v96, v88
	v_add_f32_e32 v96, v81, v85
	v_add_f32_e32 v166, v105, v98
	;; [unrolled: 1-line block ×3, first 2 shown]
	v_fma_f32 v170, -0.5, v108, v91
	v_sub_f32_e32 v167, v94, v10
	v_sub_f32_e32 v168, v86, v82
	v_fma_f32 v156, -0.5, v111, v91
	v_fmac_f32_e32 v107, 0x3e9e377a, v155
	v_fma_f32 v106, -0.5, v96, v89
	v_sub_f32_e32 v96, v84, v92
	v_sub_f32_e32 v97, v80, v8
	v_add_f32_e32 v99, v9, v93
	v_sub_f32_e32 v115, v95, v11
	v_sub_f32_e32 v155, v87, v83
	v_fma_f32 v154, -0.5, v98, v90
	v_fmamk_f32 v111, v167, 0x3f737871, v170
	v_sub_f32_e32 v113, v95, v87
	v_sub_f32_e32 v169, v11, v83
	v_fmamk_f32 v197, v168, 0xbf737871, v156
	v_sub_f32_e32 v172, v87, v95
	v_sub_f32_e32 v173, v83, v11
	v_add_f32_e32 v175, v152, v100
	v_add_f32_e32 v179, v159, v107
	v_add_f32_e32 v176, v112, v102
	v_sub_f32_e32 v185, v152, v100
	v_sub_f32_e32 v189, v159, v107
	;; [unrolled: 1-line block ×7, first 2 shown]
	v_add_f32_e32 v159, v97, v96
	v_fma_f32 v107, -0.5, v99, v89
	v_fmamk_f32 v96, v115, 0xbf737871, v151
	v_sub_f32_e32 v109, v94, v86
	v_sub_f32_e32 v98, v10, v82
	v_fmamk_f32 v196, v155, 0x3f737871, v154
	v_sub_f32_e32 v108, v86, v94
	v_sub_f32_e32 v174, v82, v10
	v_fmac_f32_e32 v111, 0x3f167918, v168
	v_add_f32_e32 v171, v169, v113
	v_fmac_f32_e32 v197, 0x3f167918, v167
	v_add_f32_e32 v169, v173, v172
	v_fmac_f32_e32 v195, 0x3f167918, v104
	v_fmamk_f32 v100, v110, 0xbf737871, v101
	v_fmamk_f32 v102, v112, 0x3f737871, v103
	;; [unrolled: 1-line block ×4, first 2 shown]
	v_sub_f32_e32 v97, v85, v93
	v_sub_f32_e32 v99, v81, v9
	v_fmac_f32_e32 v96, 0xbf167918, v155
	v_add_f32_e32 v173, v98, v109
	v_fmac_f32_e32 v196, 0xbf167918, v115
	v_add_f32_e32 v172, v174, v108
	v_fmac_f32_e32 v111, 0x3e9e377a, v171
	v_fmac_f32_e32 v197, 0x3e9e377a, v169
	;; [unrolled: 1-line block ×6, first 2 shown]
	v_add_f32_e32 v174, v99, v97
	v_fmac_f32_e32 v96, 0x3e9e377a, v173
	v_fmac_f32_e32 v196, 0x3e9e377a, v172
	v_mul_f32_e32 v108, 0xbf167918, v111
	v_mul_f32_e32 v109, 0xbf737871, v197
	;; [unrolled: 1-line block ×4, first 2 shown]
	v_fmac_f32_e32 v100, 0x3e9e377a, v153
	v_fmac_f32_e32 v102, 0x3e9e377a, v159
	v_fmac_f32_e32 v104, 0x3e9e377a, v166
	v_fmac_f32_e32 v105, 0x3e9e377a, v174
	v_fmac_f32_e32 v108, 0x3f4f1bbd, v96
	v_fmac_f32_e32 v109, 0x3e9e377a, v196
	v_fmac_f32_e32 v111, 0x3f167918, v96
	v_fmac_f32_e32 v113, 0x3f737871, v196
	v_add_f32_e32 v184, v194, v195
	v_sub_f32_e32 v96, v100, v108
	v_sub_f32_e32 v98, v102, v109
	;; [unrolled: 1-line block ×5, first 2 shown]
	s_barrier
	buffer_gl0_inv
	ds_write_b128 v162, v[175:178]
	ds_write_b128 v162, v[179:182] offset:16
	ds_write_b128 v162, v[183:186] offset:32
	;; [unrolled: 1-line block ×4, first 2 shown]
	s_and_saveexec_b32 s1, vcc_lo
	s_cbranch_execz .LBB0_21
; %bb.20:
	v_add_f32_e32 v89, v93, v89
	v_mul_f32_e32 v181, 0x3f167918, v168
	v_mul_f32_e32 v168, 0x3f737871, v168
	v_add_f32_e32 v91, v95, v91
	v_mul_f32_e32 v178, 0x3f737871, v167
	v_add_f32_e32 v85, v85, v89
	v_mul_f32_e32 v180, 0x3f167918, v155
	v_mul_f32_e32 v155, 0x3f737871, v155
	;; [unrolled: 1-line block ×3, first 2 shown]
	v_add_f32_e32 v156, v168, v156
	v_add_f32_e32 v87, v87, v91
	;; [unrolled: 1-line block ×3, first 2 shown]
	v_mul_f32_e32 v179, 0x3f737871, v115
	v_sub_f32_e32 v170, v170, v178
	v_mul_f32_e32 v177, 0x3f167918, v152
	v_mul_f32_e32 v152, 0x3f737871, v152
	;; [unrolled: 1-line block ×4, first 2 shown]
	v_sub_f32_e32 v154, v154, v155
	v_sub_f32_e32 v155, v156, v167
	v_add_f32_e32 v83, v83, v87
	v_add_f32_e32 v81, v9, v81
	;; [unrolled: 1-line block ×4, first 2 shown]
	v_mul_f32_e32 v175, 0x3f167918, v112
	v_mul_f32_e32 v112, 0x3f737871, v112
	;; [unrolled: 1-line block ×5, first 2 shown]
	v_add_f32_e32 v151, v179, v151
	v_sub_f32_e32 v170, v170, v181
	v_mul_f32_e32 v114, 0x3f167918, v114
	v_mul_f32_e32 v172, 0x3e9e377a, v172
	v_add_f32_e32 v93, v152, v107
	v_add_f32_e32 v107, v115, v154
	;; [unrolled: 1-line block ×5, first 2 shown]
	v_mul_f32_e32 v110, 0x3f167918, v110
	v_sub_f32_e32 v86, v103, v112
	v_mul_f32_e32 v173, 0x3e9e377a, v173
	v_sub_f32_e32 v106, v106, v176
	v_add_f32_e32 v151, v180, v151
	v_add_f32_e32 v170, v171, v170
	;; [unrolled: 1-line block ×3, first 2 shown]
	v_mul_f32_e32 v174, 0x3e9e377a, v174
	v_sub_f32_e32 v89, v93, v114
	v_add_f32_e32 v93, v172, v107
	v_mul_f32_e32 v91, 0xbe9e377a, v95
	v_add_f32_e32 v9, v80, v9
	v_add_f32_e32 v80, v82, v84
	v_mul_f32_e32 v159, 0x3e9e377a, v159
	v_add_f32_e32 v84, v110, v86
	v_mul_f32_e32 v86, 0x3f737871, v95
	v_mul_f32_e32 v153, 0x3e9e377a, v153
	;; [unrolled: 1-line block ×3, first 2 shown]
	v_sub_f32_e32 v106, v106, v177
	v_add_f32_e32 v151, v173, v151
	v_mul_f32_e32 v171, 0xbf4f1bbd, v170
	v_add_f32_e32 v87, v175, v90
	v_mul_f32_e32 v82, 0x3f167918, v170
	v_add_f32_e32 v89, v174, v89
	v_fmac_f32_e32 v91, 0x3f737871, v93
	v_add_f32_e32 v88, v11, v83
	v_add_f32_e32 v8, v8, v9
	;; [unrolled: 1-line block ×4, first 2 shown]
	v_fma_f32 v101, 0xbe9e377a, v93, -v86
	v_add_f32_e32 v106, v166, v106
	v_fmac_f32_e32 v171, 0x3f167918, v151
	v_add_f32_e32 v94, v153, v87
	v_fma_f32 v82, 0xbf4f1bbd, v151, -v82
	v_sub_f32_e32 v83, v89, v91
	v_sub_f32_e32 v10, v8, v80
	v_add_f32_e32 v89, v89, v91
	v_add_f32_e32 v93, v104, v111
	;; [unrolled: 1-line block ×5, first 2 shown]
	v_lshlrev_b32_e32 v80, 3, v161
	v_sub_f32_e32 v11, v81, v88
	v_add_f32_e32 v87, v105, v113
	v_add_f32_e32 v88, v95, v101
	;; [unrolled: 1-line block ×5, first 2 shown]
	v_sub_f32_e32 v85, v106, v171
	v_sub_f32_e32 v84, v94, v82
	;; [unrolled: 1-line block ×3, first 2 shown]
	ds_write_b128 v80, v[90:93]
	ds_write_b128 v80, v[86:89] offset:16
	ds_write_b128 v80, v[8:11] offset:32
	;; [unrolled: 1-line block ×4, first 2 shown]
.LBB0_21:
	s_or_b32 exec_lo, exec_lo, s1
	s_waitcnt lgkmcnt(0)
	s_barrier
	buffer_gl0_inv
	ds_read2_b64 v[8:11], v157 offset1:90
	v_add_nc_u32_e32 v112, 0x400, v157
	v_add_nc_u32_e32 v113, 0x800, v157
	ds_read2_b64 v[80:83], v112 offset0:52 offset1:142
	ds_read2_b64 v[84:87], v113 offset0:104 offset1:194
	v_add_nc_u32_e32 v114, 0x1000, v157
	v_add_nc_u32_e32 v115, 0x1400, v157
	ds_read2_b64 v[88:91], v114 offset0:28 offset1:118
	ds_read2_b64 v[92:95], v115 offset0:80 offset1:170
	v_add_nc_u32_e32 v100, 0x1800, v157
	v_add_nc_u32_e32 v151, 0x2000, v157
	;; [unrolled: 1-line block ×3, first 2 shown]
	ds_read2_b64 v[100:103], v100 offset0:132 offset1:222
	ds_read2_b64 v[104:107], v151 offset0:56 offset1:146
	;; [unrolled: 1-line block ×3, first 2 shown]
	s_waitcnt lgkmcnt(0)
	v_mul_f32_e32 v152, v29, v11
	v_mul_f32_e32 v29, v29, v10
	s_barrier
	buffer_gl0_inv
	v_fmac_f32_e32 v152, v28, v10
	v_fma_f32 v10, v28, v11, -v29
	v_mul_f32_e32 v29, v21, v83
	v_mul_f32_e32 v21, v21, v82
	;; [unrolled: 1-line block ×6, first 2 shown]
	v_fmac_f32_e32 v29, v20, v82
	v_fma_f32 v20, v20, v83, -v21
	v_mul_f32_e32 v21, v13, v87
	v_mul_f32_e32 v13, v13, v86
	v_fmac_f32_e32 v11, v30, v80
	v_fma_f32 v28, v30, v81, -v28
	v_fmac_f32_e32 v31, v22, v84
	v_fma_f32 v22, v22, v85, -v23
	v_mul_f32_e32 v23, v15, v89
	v_fmac_f32_e32 v21, v12, v86
	v_fma_f32 v12, v12, v87, -v13
	v_mul_f32_e32 v13, v15, v88
	v_mul_f32_e32 v15, v1, v91
	;; [unrolled: 1-line block ×5, first 2 shown]
	v_fmac_f32_e32 v23, v14, v88
	v_fma_f32 v13, v14, v89, -v13
	v_fmac_f32_e32 v15, v0, v90
	v_fma_f32 v0, v0, v91, -v1
	v_fmac_f32_e32 v30, v2, v92
	v_mul_f32_e32 v1, v25, v95
	v_mul_f32_e32 v14, v25, v94
	v_fma_f32 v2, v2, v93, -v3
	v_mul_f32_e32 v3, v27, v101
	v_mul_f32_e32 v25, v27, v100
	v_fmac_f32_e32 v1, v24, v94
	v_fma_f32 v14, v24, v95, -v14
	v_mul_f32_e32 v24, v17, v103
	v_fmac_f32_e32 v3, v26, v100
	v_fma_f32 v25, v26, v101, -v25
	v_mul_f32_e32 v17, v17, v102
	v_mul_f32_e32 v26, v19, v105
	;; [unrolled: 1-line block ×3, first 2 shown]
	v_fmac_f32_e32 v24, v16, v102
	v_mul_f32_e32 v27, v5, v107
	v_fma_f32 v16, v16, v103, -v17
	v_fmac_f32_e32 v26, v18, v104
	v_mul_f32_e32 v5, v5, v106
	v_fma_f32 v17, v18, v105, -v19
	v_mul_f32_e32 v18, v7, v109
	v_fmac_f32_e32 v27, v4, v106
	v_mul_f32_e32 v7, v7, v108
	v_fma_f32 v4, v4, v107, -v5
	v_mul_f32_e32 v5, v150, v111
	v_mul_f32_e32 v19, v150, v110
	v_fmac_f32_e32 v18, v6, v108
	v_fma_f32 v6, v6, v109, -v7
	v_sub_f32_e32 v7, v8, v30
	v_fmac_f32_e32 v5, v149, v110
	v_fma_f32 v19, v149, v111, -v19
	v_sub_f32_e32 v26, v31, v26
	v_sub_f32_e32 v3, v11, v3
	;; [unrolled: 1-line block ×4, first 2 shown]
	v_fma_f32 v8, v8, 2.0, -v7
	v_sub_f32_e32 v17, v22, v17
	v_fma_f32 v30, v31, 2.0, -v26
	v_sub_f32_e32 v25, v28, v25
	;; [unrolled: 2-line block ×3, first 2 shown]
	v_sub_f32_e32 v1, v152, v1
	v_sub_f32_e32 v14, v10, v14
	v_fma_f32 v23, v23, 2.0, -v18
	v_sub_f32_e32 v27, v21, v27
	v_sub_f32_e32 v4, v12, v4
	;; [unrolled: 1-line block ×6, first 2 shown]
	v_fma_f32 v9, v9, 2.0, -v2
	v_fma_f32 v22, v22, 2.0, -v17
	;; [unrolled: 1-line block ×11, first 2 shown]
	v_sub_f32_e32 v30, v8, v30
	v_fma_f32 v0, v0, 2.0, -v19
	v_add_f32_e32 v17, v7, v17
	v_sub_f32_e32 v26, v2, v26
	v_sub_f32_e32 v23, v11, v23
	v_add_f32_e32 v6, v3, v6
	v_sub_f32_e32 v18, v25, v18
	v_add_f32_e32 v4, v1, v4
	v_add_f32_e32 v19, v24, v19
	v_sub_f32_e32 v22, v9, v22
	v_fma_f32 v8, v8, 2.0, -v30
	v_fma_f32 v7, v7, 2.0, -v17
	;; [unrolled: 1-line block ×3, first 2 shown]
	v_sub_f32_e32 v13, v28, v13
	v_fma_f32 v11, v11, 2.0, -v23
	v_sub_f32_e32 v21, v31, v21
	v_fma_f32 v3, v3, 2.0, -v6
	;; [unrolled: 2-line block ×3, first 2 shown]
	v_sub_f32_e32 v27, v14, v27
	v_sub_f32_e32 v15, v29, v15
	;; [unrolled: 1-line block ×3, first 2 shown]
	v_fma_f32 v1, v1, 2.0, -v4
	v_sub_f32_e32 v5, v16, v5
	v_fma_f32 v24, v24, 2.0, -v19
	v_fma_f32 v31, v31, 2.0, -v21
	;; [unrolled: 1-line block ×6, first 2 shown]
	v_fmamk_f32 v80, v3, 0xbf3504f3, v7
	v_sub_f32_e32 v81, v8, v11
	v_fmamk_f32 v82, v25, 0xbf3504f3, v2
	v_fma_f32 v11, v16, 2.0, -v5
	v_fmamk_f32 v83, v6, 0x3f3504f3, v17
	v_add_f32_e32 v84, v30, v13
	v_sub_f32_e32 v85, v22, v23
	v_fmamk_f32 v23, v24, 0xbf3504f3, v1
	v_fma_f32 v9, v9, 2.0, -v22
	v_fma_f32 v28, v28, 2.0, -v13
	v_fmac_f32_e32 v80, 0x3f3504f3, v25
	v_fmac_f32_e32 v82, 0xbf3504f3, v3
	v_fmamk_f32 v86, v18, 0x3f3504f3, v26
	v_fmac_f32_e32 v83, 0x3f3504f3, v18
	v_fma_f32 v18, v30, 2.0, -v84
	v_sub_f32_e32 v25, v31, v29
	v_sub_f32_e32 v20, v10, v20
	v_fmamk_f32 v29, v11, 0xbf3504f3, v14
	v_fmac_f32_e32 v23, 0x3f3504f3, v11
	v_fmamk_f32 v30, v19, 0x3f3504f3, v4
	v_sub_f32_e32 v28, v9, v28
	v_fma_f32 v8, v8, 2.0, -v81
	v_fma_f32 v16, v7, 2.0, -v80
	;; [unrolled: 1-line block ×5, first 2 shown]
	v_fmac_f32_e32 v29, 0xbf3504f3, v24
	v_fma_f32 v10, v1, 2.0, -v23
	v_add_f32_e32 v31, v21, v0
	v_fmamk_f32 v88, v5, 0x3f3504f3, v27
	v_fmac_f32_e32 v30, 0x3f3504f3, v5
	v_fma_f32 v9, v9, 2.0, -v28
	v_fmac_f32_e32 v86, 0xbf3504f3, v6
	v_fma_f32 v17, v17, 2.0, -v83
	v_sub_f32_e32 v87, v12, v15
	v_fma_f32 v6, v14, 2.0, -v29
	v_fma_f32 v11, v21, 2.0, -v31
	v_fmac_f32_e32 v88, 0xbf3504f3, v19
	v_sub_f32_e32 v0, v8, v2
	v_fma_f32 v14, v4, 2.0, -v30
	v_fmamk_f32 v2, v10, 0xbf6c835e, v16
	v_fma_f32 v22, v22, 2.0, -v85
	v_fma_f32 v26, v26, 2.0, -v86
	;; [unrolled: 1-line block ×3, first 2 shown]
	v_sub_f32_e32 v1, v9, v3
	v_fma_f32 v15, v27, 2.0, -v88
	v_fma_f32 v4, v8, 2.0, -v0
	v_fmamk_f32 v3, v6, 0xbf6c835e, v13
	v_fmac_f32_e32 v2, 0x3ec3ef15, v6
	v_fmamk_f32 v6, v11, 0xbf3504f3, v18
	v_fmamk_f32 v8, v14, 0xbec3ef15, v17
	v_fma_f32 v5, v9, 2.0, -v1
	v_fmamk_f32 v7, v12, 0xbf3504f3, v22
	v_fmamk_f32 v9, v15, 0xbec3ef15, v26
	v_fmac_f32_e32 v6, 0x3f3504f3, v12
	v_fmac_f32_e32 v8, 0x3f6c835e, v15
	v_fmac_f32_e32 v3, 0xbec3ef15, v10
	v_fmac_f32_e32 v7, 0xbf3504f3, v11
	v_fmac_f32_e32 v9, 0xbf6c835e, v14
	v_fma_f32 v12, v18, 2.0, -v6
	v_fma_f32 v14, v17, 2.0, -v8
	v_sub_f32_e32 v17, v28, v25
	v_fmamk_f32 v18, v23, 0x3ec3ef15, v80
	v_fmamk_f32 v19, v29, 0x3ec3ef15, v82
	v_fma_f32 v11, v13, 2.0, -v3
	v_fma_f32 v13, v22, 2.0, -v7
	;; [unrolled: 1-line block ×3, first 2 shown]
	v_fmac_f32_e32 v18, 0x3f6c835e, v29
	v_fmac_f32_e32 v19, 0xbf6c835e, v23
	v_fmamk_f32 v22, v31, 0x3f3504f3, v84
	v_fmamk_f32 v23, v87, 0x3f3504f3, v85
	;; [unrolled: 1-line block ×4, first 2 shown]
	v_fma_f32 v10, v16, 2.0, -v2
	v_add_f32_e32 v16, v81, v20
	v_fmac_f32_e32 v22, 0x3f3504f3, v87
	v_fmac_f32_e32 v23, 0xbf3504f3, v31
	;; [unrolled: 1-line block ×4, first 2 shown]
	v_fma_f32 v15, v26, 2.0, -v9
	v_fma_f32 v20, v81, 2.0, -v16
	v_fma_f32 v24, v80, 2.0, -v18
	v_fma_f32 v25, v82, 2.0, -v19
	v_fma_f32 v26, v84, 2.0, -v22
	v_fma_f32 v27, v85, 2.0, -v23
	v_fma_f32 v30, v83, 2.0, -v28
	v_fma_f32 v31, v86, 2.0, -v29
	ds_write2_b64 v160, v[4:5], v[10:11] offset1:10
	ds_write2_b64 v160, v[12:13], v[14:15] offset0:20 offset1:30
	ds_write2_b64 v160, v[20:21], v[24:25] offset0:40 offset1:50
	;; [unrolled: 1-line block ×7, first 2 shown]
	v_add_nc_u32_e32 v4, 0x1c00, v157
	s_waitcnt lgkmcnt(0)
	s_barrier
	buffer_gl0_inv
	ds_read2_b64 v[8:11], v157 offset1:90
	ds_read2_b64 v[0:3], v113 offset0:104 offset1:224
	ds_read2_b64 v[24:27], v4 offset0:64 offset1:154
	;; [unrolled: 1-line block ×6, first 2 shown]
	ds_read_b64 v[30:31], v157 offset:10560
	s_and_saveexec_b32 s1, s0
	s_cbranch_execz .LBB0_23
; %bb.22:
	ds_read_b64 v[28:29], v157 offset:3600
	ds_read_b64 v[96:97], v157 offset:7440
	;; [unrolled: 1-line block ×3, first 2 shown]
.LBB0_23:
	s_or_b32 exec_lo, exec_lo, s1
	s_waitcnt lgkmcnt(6)
	v_mul_f32_e32 v80, v41, v3
	v_mul_f32_e32 v41, v41, v2
	s_waitcnt lgkmcnt(5)
	v_mul_f32_e32 v81, v43, v25
	v_mul_f32_e32 v43, v43, v24
	s_waitcnt lgkmcnt(0)
	v_fmac_f32_e32 v80, v40, v2
	v_fma_f32 v3, v40, v3, -v41
	v_mul_f32_e32 v40, v45, v21
	v_mul_f32_e32 v2, v45, v20
	v_fmac_f32_e32 v81, v42, v24
	v_fma_f32 v24, v42, v25, -v43
	v_mul_f32_e32 v25, v47, v27
	v_fmac_f32_e32 v40, v44, v20
	v_mul_f32_e32 v20, v47, v26
	v_fma_f32 v21, v44, v21, -v2
	v_mul_f32_e32 v2, v33, v22
	v_mul_f32_e32 v41, v33, v23
	v_fmac_f32_e32 v25, v46, v26
	v_fma_f32 v20, v46, v27, -v20
	v_mul_f32_e32 v27, v57, v13
	v_fma_f32 v23, v32, v23, -v2
	v_mul_f32_e32 v2, v57, v12
	v_mul_f32_e32 v26, v35, v17
	v_fmac_f32_e32 v41, v32, v22
	v_fmac_f32_e32 v27, v56, v12
	v_mul_f32_e32 v12, v59, v18
	v_mul_f32_e32 v22, v35, v16
	v_fma_f32 v33, v56, v13, -v2
	v_mul_f32_e32 v2, v53, v14
	v_mul_f32_e32 v42, v55, v31
	v_fma_f32 v35, v58, v19, -v12
	v_mul_f32_e32 v12, v55, v30
	v_fmac_f32_e32 v26, v34, v16
	v_fma_f32 v43, v52, v15, -v2
	v_fmac_f32_e32 v42, v54, v30
	v_mul_f32_e32 v2, v49, v96
	v_fma_f32 v30, v54, v31, -v12
	v_mul_f32_e32 v12, v51, v98
	v_fma_f32 v22, v34, v17, -v22
	;; [unrolled: 2-line block ×3, first 2 shown]
	v_add_f32_e32 v2, v80, v81
	v_add_f32_e32 v13, v8, v80
	v_fma_f32 v46, v50, v99, -v12
	v_add_f32_e32 v12, v3, v24
	v_fmac_f32_e32 v34, v52, v14
	v_fma_f32 v2, -0.5, v2, v8
	v_sub_f32_e32 v14, v3, v24
	v_add_f32_e32 v8, v13, v81
	v_add_f32_e32 v13, v9, v3
	v_fma_f32 v3, -0.5, v12, v9
	v_sub_f32_e32 v15, v80, v81
	v_mul_f32_e32 v32, v59, v19
	v_fmamk_f32 v12, v14, 0xbf5db3d7, v2
	v_fmac_f32_e32 v2, 0x3f5db3d7, v14
	v_add_f32_e32 v9, v13, v24
	v_add_f32_e32 v14, v40, v25
	v_fmamk_f32 v13, v15, 0x3f5db3d7, v3
	v_fmac_f32_e32 v3, 0xbf5db3d7, v15
	v_add_f32_e32 v15, v21, v20
	v_fmac_f32_e32 v32, v58, v18
	v_add_f32_e32 v16, v10, v40
	v_fma_f32 v10, -0.5, v14, v10
	v_sub_f32_e32 v17, v21, v20
	v_add_f32_e32 v18, v11, v21
	v_fmac_f32_e32 v11, -0.5, v15
	v_sub_f32_e32 v19, v40, v25
	v_add_f32_e32 v14, v16, v25
	v_fmamk_f32 v16, v17, 0xbf5db3d7, v10
	v_fmac_f32_e32 v10, 0x3f5db3d7, v17
	v_add_f32_e32 v15, v18, v20
	v_add_f32_e32 v18, v41, v26
	v_fmamk_f32 v17, v19, 0x3f5db3d7, v11
	v_fmac_f32_e32 v11, 0xbf5db3d7, v19
	v_add_f32_e32 v19, v23, v22
	v_add_f32_e32 v20, v4, v41
	v_fma_f32 v4, -0.5, v18, v4
	v_sub_f32_e32 v21, v23, v22
	v_add_f32_e32 v23, v5, v23
	v_fma_f32 v5, -0.5, v19, v5
	v_sub_f32_e32 v24, v41, v26
	v_add_f32_e32 v18, v20, v26
	v_fmamk_f32 v20, v21, 0xbf5db3d7, v4
	v_fmac_f32_e32 v4, 0x3f5db3d7, v21
	v_add_f32_e32 v19, v23, v22
	v_add_f32_e32 v22, v27, v32
	v_fmamk_f32 v21, v24, 0x3f5db3d7, v5
	v_add_f32_e32 v23, v6, v27
	v_fmac_f32_e32 v5, 0xbf5db3d7, v24
	v_add_f32_e32 v24, v33, v35
	v_mul_f32_e32 v44, v49, v97
	v_mul_f32_e32 v31, v51, v99
	v_fma_f32 v6, -0.5, v22, v6
	v_sub_f32_e32 v25, v33, v35
	v_add_f32_e32 v22, v23, v32
	v_add_f32_e32 v23, v7, v33
	v_fmac_f32_e32 v7, -0.5, v24
	v_sub_f32_e32 v26, v27, v32
	v_add_f32_e32 v27, v34, v42
	v_add_f32_e32 v32, v0, v34
	v_fmac_f32_e32 v44, v48, v96
	v_fmac_f32_e32 v31, v50, v98
	v_fmamk_f32 v24, v25, 0xbf5db3d7, v6
	v_fmac_f32_e32 v6, 0x3f5db3d7, v25
	v_fmamk_f32 v25, v26, 0x3f5db3d7, v7
	v_fmac_f32_e32 v7, 0xbf5db3d7, v26
	v_add_f32_e32 v33, v43, v30
	v_fma_f32 v0, -0.5, v27, v0
	v_sub_f32_e32 v27, v43, v30
	v_add_f32_e32 v26, v32, v42
	v_add_f32_e32 v32, v1, v43
	v_fmac_f32_e32 v1, -0.5, v33
	v_sub_f32_e32 v33, v34, v42
	v_fmamk_f32 v34, v27, 0xbf5db3d7, v0
	v_fmac_f32_e32 v0, 0x3f5db3d7, v27
	v_add_f32_e32 v27, v32, v30
	v_add_f32_e32 v30, v44, v31
	;; [unrolled: 1-line block ×4, first 2 shown]
	v_fmamk_f32 v35, v33, 0x3f5db3d7, v1
	v_fmac_f32_e32 v1, 0xbf5db3d7, v33
	v_add_f32_e32 v33, v28, v44
	v_fmac_f32_e32 v28, -0.5, v30
	v_sub_f32_e32 v40, v45, v46
	v_add_f32_e32 v41, v29, v45
	v_fmac_f32_e32 v29, -0.5, v32
	v_sub_f32_e32 v42, v44, v31
	v_add_f32_e32 v30, v33, v31
	v_fmamk_f32 v32, v40, 0xbf5db3d7, v28
	v_fmac_f32_e32 v28, 0x3f5db3d7, v40
	v_add_f32_e32 v31, v41, v46
	v_fmamk_f32 v33, v42, 0x3f5db3d7, v29
	v_fmac_f32_e32 v29, 0xbf5db3d7, v42
	s_barrier
	buffer_gl0_inv
	ds_write2_b64 v157, v[8:9], v[12:13] offset1:160
	v_add_nc_u32_e32 v8, 0xe00, v157
	ds_write_b64 v157, v[2:3] offset:2560
	ds_write2_b64 v165, v[14:15], v[16:17] offset1:160
	ds_write_b64 v165, v[10:11] offset:2560
	v_add_nc_u32_e32 v2, 0x1c00, v163
	ds_write2_b64 v8, v[18:19], v[20:21] offset0:52 offset1:212
	ds_write_b64 v157, v[4:5] offset:6560
	ds_write2_b64 v164, v[22:23], v[24:25] offset1:160
	ds_write_b64 v164, v[6:7] offset:2560
	ds_write2_b64 v2, v[26:27], v[34:35] offset0:64 offset1:224
	ds_write_b64 v163, v[0:1] offset:10240
	s_and_saveexec_b32 s1, s0
	s_cbranch_execz .LBB0_25
; %bb.24:
	v_mov_b32_e32 v0, 3
	v_lshlrev_b32_sdwa v0, v0, v128 dst_sel:DWORD dst_unused:UNUSED_PAD src0_sel:DWORD src1_sel:WORD_0
	v_add_nc_u32_e32 v1, 0x1c00, v0
	ds_write2_b64 v1, v[30:31], v[32:33] offset0:64 offset1:224
	ds_write_b64 v0, v[28:29] offset:10240
.LBB0_25:
	s_or_b32 exec_lo, exec_lo, s1
	v_add_nc_u32_e32 v8, 0x1c00, v157
	v_add_nc_u32_e32 v0, 0x800, v157
	;; [unrolled: 1-line block ×6, first 2 shown]
	s_waitcnt lgkmcnt(0)
	s_barrier
	buffer_gl0_inv
	ds_read2_b64 v[4:7], v157 offset1:90
	ds_read2_b64 v[0:3], v0 offset0:104 offset1:224
	ds_read2_b64 v[24:27], v8 offset0:64 offset1:154
	;; [unrolled: 1-line block ×6, first 2 shown]
	ds_read_b64 v[34:35], v157 offset:10560
	s_and_saveexec_b32 s1, s0
	s_cbranch_execz .LBB0_27
; %bb.26:
	ds_read_b64 v[30:31], v157 offset:3600
	ds_read_b64 v[32:33], v157 offset:7440
	;; [unrolled: 1-line block ×3, first 2 shown]
.LBB0_27:
	s_or_b32 exec_lo, exec_lo, s1
	s_waitcnt lgkmcnt(6)
	v_mul_f32_e32 v45, v69, v2
	v_mul_f32_e32 v44, v69, v3
	s_waitcnt lgkmcnt(5)
	v_mul_f32_e32 v46, v71, v25
	v_mul_f32_e32 v47, v71, v24
	s_waitcnt lgkmcnt(1)
	v_mul_f32_e32 v50, v65, v15
	v_fma_f32 v3, v68, v3, -v45
	v_mul_f32_e32 v45, v73, v21
	v_fmac_f32_e32 v44, v68, v2
	v_mul_f32_e32 v2, v73, v20
	v_fmac_f32_e32 v46, v70, v24
	v_fma_f32 v24, v70, v25, -v47
	v_fmac_f32_e32 v45, v72, v20
	v_mul_f32_e32 v20, v75, v26
	v_mul_f32_e32 v25, v75, v27
	v_fma_f32 v21, v72, v21, -v2
	v_mul_f32_e32 v2, v61, v22
	v_mul_f32_e32 v47, v61, v23
	v_fma_f32 v20, v74, v27, -v20
	v_mul_f32_e32 v27, v77, v13
	s_waitcnt lgkmcnt(0)
	v_mul_f32_e32 v52, v67, v35
	v_fma_f32 v23, v60, v23, -v2
	v_mul_f32_e32 v2, v77, v12
	v_fmac_f32_e32 v25, v74, v26
	v_fmac_f32_e32 v27, v76, v12
	v_mul_f32_e32 v12, v79, v18
	v_fmac_f32_e32 v50, v64, v14
	v_fma_f32 v49, v76, v13, -v2
	v_mul_f32_e32 v2, v65, v14
	v_add_f32_e32 v13, v4, v44
	v_fma_f32 v51, v78, v19, -v12
	v_mul_f32_e32 v12, v67, v34
	v_sub_f32_e32 v14, v3, v24
	v_fma_f32 v53, v64, v15, -v2
	v_add_f32_e32 v2, v44, v46
	v_sub_f32_e32 v15, v44, v46
	v_fma_f32 v35, v66, v35, -v12
	v_add_f32_e32 v12, v3, v24
	v_mul_f32_e32 v26, v63, v17
	v_fma_f32 v2, -0.5, v2, v4
	v_add_f32_e32 v4, v13, v46
	v_add_f32_e32 v13, v5, v3
	v_fma_f32 v3, -0.5, v12, v5
	v_fmac_f32_e32 v47, v60, v22
	v_mul_f32_e32 v22, v63, v16
	v_mul_f32_e32 v48, v79, v19
	v_fmamk_f32 v12, v14, 0xbf5db3d7, v2
	v_fmac_f32_e32 v2, 0x3f5db3d7, v14
	v_add_f32_e32 v5, v13, v24
	v_add_f32_e32 v14, v45, v25
	v_fmamk_f32 v13, v15, 0x3f5db3d7, v3
	v_fmac_f32_e32 v3, 0xbf5db3d7, v15
	v_add_f32_e32 v15, v21, v20
	v_fmac_f32_e32 v26, v62, v16
	v_fma_f32 v22, v62, v17, -v22
	v_fmac_f32_e32 v48, v78, v18
	v_add_f32_e32 v16, v6, v45
	v_fma_f32 v6, -0.5, v14, v6
	v_sub_f32_e32 v17, v21, v20
	v_add_f32_e32 v18, v7, v21
	v_fmac_f32_e32 v7, -0.5, v15
	v_sub_f32_e32 v19, v45, v25
	v_add_f32_e32 v14, v16, v25
	v_fmamk_f32 v16, v17, 0xbf5db3d7, v6
	v_fmac_f32_e32 v6, 0x3f5db3d7, v17
	v_add_f32_e32 v15, v18, v20
	v_add_f32_e32 v18, v47, v26
	v_fmamk_f32 v17, v19, 0x3f5db3d7, v7
	v_fmac_f32_e32 v7, 0xbf5db3d7, v19
	v_add_f32_e32 v19, v23, v22
	v_add_f32_e32 v20, v8, v47
	v_fma_f32 v8, -0.5, v18, v8
	v_sub_f32_e32 v21, v23, v22
	v_add_f32_e32 v23, v9, v23
	v_fma_f32 v9, -0.5, v19, v9
	v_sub_f32_e32 v24, v47, v26
	v_add_f32_e32 v18, v20, v26
	v_fmamk_f32 v20, v21, 0xbf5db3d7, v8
	v_fmac_f32_e32 v8, 0x3f5db3d7, v21
	v_add_f32_e32 v19, v23, v22
	v_add_f32_e32 v22, v27, v48
	v_fmamk_f32 v21, v24, 0x3f5db3d7, v9
	v_add_f32_e32 v23, v10, v27
	v_fmac_f32_e32 v9, 0xbf5db3d7, v24
	v_add_f32_e32 v24, v49, v51
	v_fmac_f32_e32 v52, v66, v34
	v_fma_f32 v10, -0.5, v22, v10
	v_sub_f32_e32 v25, v49, v51
	v_add_f32_e32 v22, v23, v48
	v_add_f32_e32 v23, v11, v49
	v_fmac_f32_e32 v11, -0.5, v24
	v_sub_f32_e32 v26, v27, v48
	v_fmamk_f32 v24, v25, 0xbf5db3d7, v10
	v_fmac_f32_e32 v10, 0x3f5db3d7, v25
	v_add_f32_e32 v27, v50, v52
	v_add_f32_e32 v34, v0, v50
	v_fmamk_f32 v25, v26, 0x3f5db3d7, v11
	v_fmac_f32_e32 v11, 0xbf5db3d7, v26
	v_add_f32_e32 v26, v53, v35
	v_fma_f32 v0, -0.5, v27, v0
	v_sub_f32_e32 v27, v53, v35
	v_add_f32_e32 v44, v1, v53
	v_sub_f32_e32 v45, v50, v52
	v_fmac_f32_e32 v1, -0.5, v26
	v_add_f32_e32 v23, v23, v51
	v_add_f32_e32 v26, v34, v52
	v_fmamk_f32 v34, v27, 0xbf5db3d7, v0
	v_fmac_f32_e32 v0, 0x3f5db3d7, v27
	v_add_f32_e32 v27, v44, v35
	v_fmamk_f32 v35, v45, 0x3f5db3d7, v1
	v_fmac_f32_e32 v1, 0xbf5db3d7, v45
	ds_write_b64 v157, v[12:13] offset:3840
	ds_write_b64 v157, v[2:3] offset:7680
	ds_write2_b64 v157, v[4:5], v[14:15] offset1:90
	ds_write_b64 v157, v[6:7] offset:8400
	ds_write2_b64 v43, v[16:17], v[20:21] offset0:58 offset1:148
	ds_write2_b64 v42, v[18:19], v[22:23] offset0:52 offset1:142
	;; [unrolled: 1-line block ×3, first 2 shown]
	ds_write_b64 v157, v[26:27] offset:2880
	ds_write2_b64 v40, v[24:25], v[34:35] offset0:110 offset1:200
	ds_write_b64 v157, v[0:1] offset:10560
	s_and_saveexec_b32 s1, s0
	s_cbranch_execz .LBB0_29
; %bb.28:
	v_mul_f32_e32 v0, v37, v32
	v_mul_f32_e32 v1, v39, v28
	;; [unrolled: 1-line block ×4, first 2 shown]
	v_fma_f32 v0, v36, v33, -v0
	v_fma_f32 v3, v38, v29, -v1
	v_fmac_f32_e32 v2, v36, v32
	v_fmac_f32_e32 v4, v38, v28
	v_add_f32_e32 v7, v31, v0
	v_add_f32_e32 v1, v0, v3
	v_sub_f32_e32 v8, v0, v3
	v_add_f32_e32 v5, v2, v4
	v_sub_f32_e32 v6, v2, v4
	v_add_f32_e32 v2, v30, v2
	v_fma_f32 v1, -0.5, v1, v31
	v_add_f32_e32 v3, v7, v3
	v_fma_f32 v0, -0.5, v5, v30
	v_add_f32_e32 v2, v2, v4
	v_fmamk_f32 v5, v6, 0xbf5db3d7, v1
	v_fmac_f32_e32 v1, 0x3f5db3d7, v6
	v_fmamk_f32 v4, v8, 0x3f5db3d7, v0
	v_fmac_f32_e32 v0, 0xbf5db3d7, v8
	ds_write_b64 v157, v[2:3] offset:3600
	ds_write_b64 v157, v[0:1] offset:7440
	;; [unrolled: 1-line block ×3, first 2 shown]
.LBB0_29:
	s_or_b32 exec_lo, exec_lo, s1
	s_waitcnt lgkmcnt(0)
	s_barrier
	buffer_gl0_inv
	ds_read2_b64 v[0:3], v157 offset1:144
	v_mad_u64_u32 v[12:13], null, s10, v126, 0
	v_mad_u64_u32 v[14:15], null, s8, v127, 0
	v_add_nc_u32_e32 v4, 0x800, v157
	v_add_nc_u32_e32 v8, 0x1000, v157
	ds_read2_b64 v[4:7], v4 offset0:32 offset1:176
	ds_read2_b64 v[8:11], v8 offset0:64 offset1:208
	s_mov_b32 s4, 0x16c16c17
	s_mov_b32 s5, 0x3f46c16c
	s_mul_i32 s0, s9, 0x90
	s_mul_hi_u32 s1, s8, 0x90
	v_mad_u64_u32 v[42:43], null, s8, v158, 0
	s_add_i32 s1, s1, s0
	s_waitcnt lgkmcnt(2)
	v_mul_f32_e32 v16, v146, v1
	v_mul_f32_e32 v17, v146, v0
	;; [unrolled: 1-line block ×4, first 2 shown]
	v_fmac_f32_e32 v16, v145, v0
	v_fma_f32 v17, v145, v1, -v17
	v_mad_u64_u32 v[0:1], null, s11, v126, v[13:14]
	v_fmac_f32_e32 v18, v143, v2
	v_cvt_f64_f32_e32 v[1:2], v16
	v_cvt_f64_f32_e32 v[16:17], v17
	v_fma_f32 v3, v143, v3, -v19
	s_waitcnt lgkmcnt(1)
	v_mul_f32_e32 v24, v140, v6
	v_cvt_f64_f32_e32 v[18:19], v18
	v_mov_b32_e32 v13, v0
	v_mul_f32_e32 v0, v148, v5
	v_cvt_f64_f32_e32 v[20:21], v3
	v_mul_f32_e32 v3, v148, v4
	s_waitcnt lgkmcnt(0)
	v_mul_f32_e32 v25, v138, v9
	v_lshlrev_b64 v[12:13], 3, v[12:13]
	v_fmac_f32_e32 v0, v147, v4
	v_mul_f32_e32 v30, v138, v8
	v_fma_f32 v5, v147, v5, -v3
	v_fmac_f32_e32 v25, v137, v8
	v_cvt_f64_f32_e32 v[3:4], v0
	v_add_co_u32 v48, s0, s2, v12
	v_add_co_ci_u32_e64 v49, s0, s3, v13, s0
	v_fma_f32 v9, v137, v9, -v30
	v_mul_f64 v[0:1], v[1:2], s[4:5]
	v_mad_u64_u32 v[22:23], null, s9, v127, v[15:16]
	v_mul_f32_e32 v23, v140, v7
	v_mul_f64 v[16:17], v[16:17], s[4:5]
	v_mul_f64 v[18:19], v[18:19], s[4:5]
	v_fma_f32 v7, v139, v7, -v24
	v_mul_f64 v[20:21], v[20:21], s[4:5]
	v_fmac_f32_e32 v23, v139, v6
	v_mov_b32_e32 v15, v22
	v_cvt_f64_f32_e32 v[5:6], v5
	v_cvt_f64_f32_e32 v[12:13], v7
	v_mul_f32_e32 v2, v142, v11
	v_cvt_f64_f32_e32 v[22:23], v23
	v_cvt_f64_f32_e32 v[24:25], v25
	v_lshlrev_b64 v[14:15], 3, v[14:15]
	v_mul_f64 v[7:8], v[3:4], s[4:5]
	v_fmac_f32_e32 v2, v141, v10
	v_add_co_u32 v14, s0, v48, v14
	v_cvt_f32_f64_e32 v28, v[0:1]
	v_add_nc_u32_e32 v1, 0x1800, v157
	v_mul_f32_e32 v0, v142, v10
	v_cvt_f32_f64_e32 v29, v[16:17]
	v_cvt_f32_f64_e32 v16, v[18:19]
	v_cvt_f64_f32_e32 v[18:19], v2
	v_cvt_f32_f64_e32 v17, v[20:21]
	v_fma_f32 v10, v141, v11, -v0
	v_add_nc_u32_e32 v2, 0x2400, v157
	v_mul_f64 v[26:27], v[5:6], s[4:5]
	ds_read2_b64 v[3:6], v1 offset0:96 offset1:240
	v_cvt_f64_f32_e32 v[0:1], v9
	v_mul_f64 v[22:23], v[22:23], s[4:5]
	v_cvt_f64_f32_e32 v[20:21], v10
	v_add_co_ci_u32_e64 v15, s0, v49, v15, s0
	v_cvt_f32_f64_e32 v32, v[7:8]
	ds_read2_b64 v[7:10], v2 offset1:144
	s_mul_i32 s0, s8, 0x90
	v_mul_f64 v[12:13], v[12:13], s[4:5]
	s_lshl_b64 s[2:3], s[0:1], 3
	v_add_co_u32 v30, s0, v14, s2
	v_add_co_ci_u32_e64 v31, s0, s3, v15, s0
	global_store_dwordx2 v[14:15], v[28:29], off
	global_store_dwordx2 v[30:31], v[16:17], off
	v_mul_f64 v[18:19], v[18:19], s[4:5]
	s_waitcnt lgkmcnt(1)
	v_mul_f32_e32 v34, v136, v6
	v_cvt_f32_f64_e32 v33, v[26:27]
	v_add_co_u32 v26, s0, v30, s2
	v_cvt_f32_f64_e32 v11, v[22:23]
	v_mul_f64 v[22:23], v[24:25], s[4:5]
	v_mul_f32_e32 v24, v134, v4
	v_mul_f32_e32 v25, v134, v3
	v_fmac_f32_e32 v34, v135, v5
	v_mul_f32_e32 v5, v136, v5
	s_waitcnt lgkmcnt(0)
	v_mul_f32_e32 v36, v130, v8
	v_fmac_f32_e32 v24, v133, v3
	v_fma_f32 v25, v133, v4, -v25
	v_mul_f64 v[3:4], v[20:21], s[4:5]
	v_mul_f32_e32 v37, v130, v7
	v_mul_f64 v[0:1], v[0:1], s[4:5]
	v_cvt_f64_f32_e32 v[20:21], v24
	v_cvt_f64_f32_e32 v[24:25], v25
	v_cvt_f64_f32_e32 v[34:35], v34
	v_fma_f32 v5, v135, v6, -v5
	v_mul_f32_e32 v38, v132, v10
	v_mul_f32_e32 v39, v132, v9
	v_fmac_f32_e32 v36, v129, v7
	v_fma_f32 v37, v129, v8, -v37
	v_cvt_f64_f32_e32 v[5:6], v5
	v_fmac_f32_e32 v38, v131, v9
	v_fma_f32 v39, v131, v10, -v39
	v_cvt_f64_f32_e32 v[7:8], v36
	v_cvt_f64_f32_e32 v[9:10], v37
	v_add_co_ci_u32_e64 v27, s0, s3, v31, s0
	v_cvt_f64_f32_e32 v[36:37], v38
	v_cvt_f64_f32_e32 v[38:39], v39
	v_cvt_f32_f64_e32 v22, v[22:23]
	v_add_co_u32 v40, s0, v26, s2
	v_add_co_ci_u32_e64 v41, s0, s3, v27, s0
	v_mul_f64 v[20:21], v[20:21], s[4:5]
	v_mul_f64 v[24:25], v[24:25], s[4:5]
	v_cvt_f32_f64_e32 v23, v[0:1]
	v_mul_f64 v[0:1], v[34:35], s[4:5]
	v_cvt_f32_f64_e32 v18, v[18:19]
	v_cvt_f32_f64_e32 v19, v[3:4]
	v_add_co_u32 v34, s0, v40, s2
	v_mul_f64 v[3:4], v[5:6], s[4:5]
	v_add_co_ci_u32_e64 v35, s0, s3, v41, s0
	v_mul_f64 v[7:8], v[7:8], s[4:5]
	v_mul_f64 v[9:10], v[9:10], s[4:5]
	v_add_co_u32 v5, s0, v34, s2
	v_mul_f64 v[36:37], v[36:37], s[4:5]
	v_mul_f64 v[38:39], v[38:39], s[4:5]
	v_add_co_ci_u32_e64 v6, s0, s3, v35, s0
	v_cvt_f32_f64_e32 v12, v[12:13]
	global_store_dwordx2 v[26:27], v[32:33], off
	global_store_dwordx2 v[40:41], v[11:12], off
	;; [unrolled: 1-line block ×3, first 2 shown]
	v_cvt_f32_f64_e32 v20, v[20:21]
	v_cvt_f32_f64_e32 v21, v[24:25]
	v_add_co_u32 v24, s0, v5, s2
	v_add_co_ci_u32_e64 v25, s0, s3, v6, s0
	v_cvt_f32_f64_e32 v44, v[0:1]
	v_mov_b32_e32 v0, v43
	v_add_co_u32 v46, s0, v24, s2
	v_add_co_ci_u32_e64 v47, s0, s3, v25, s0
	v_cvt_f32_f64_e32 v45, v[3:4]
	v_mad_u64_u32 v[3:4], null, s9, v158, v[0:1]
	v_mad_u64_u32 v[0:1], null, 0x900, s8, v[46:47]
	v_cvt_f32_f64_e32 v7, v[7:8]
	v_cvt_f32_f64_e32 v8, v[9:10]
	;; [unrolled: 1-line block ×4, first 2 shown]
	v_mov_b32_e32 v43, v3
	v_mad_u64_u32 v[13:14], null, 0x900, s9, v[1:2]
	v_lshlrev_b64 v[3:4], 3, v[42:43]
	v_mov_b32_e32 v1, v13
	v_add_co_u32 v3, s0, v48, v3
	v_add_co_ci_u32_e64 v4, s0, v49, v4, s0
	global_store_dwordx2 v[5:6], v[18:19], off
	global_store_dwordx2 v[24:25], v[20:21], off
	;; [unrolled: 1-line block ×5, first 2 shown]
	s_and_b32 exec_lo, exec_lo, vcc_lo
	s_cbranch_execz .LBB0_31
; %bb.30:
	global_load_dwordx2 v[7:8], v[116:117], off offset:720
	ds_read2_b64 v[3:6], v157 offset0:90 offset1:234
	v_mad_u64_u32 v[0:1], null, 0xffffda50, s8, v[0:1]
	s_mul_i32 s0, s9, 0xffffda50
	s_sub_i32 s0, s0, s8
	v_add_nc_u32_e32 v1, s0, v1
	s_waitcnt vmcnt(0) lgkmcnt(0)
	v_mul_f32_e32 v9, v4, v8
	v_mul_f32_e32 v8, v3, v8
	v_fmac_f32_e32 v9, v3, v7
	v_fma_f32 v7, v7, v4, -v8
	v_cvt_f64_f32_e32 v[3:4], v9
	v_cvt_f64_f32_e32 v[7:8], v7
	v_mul_f64 v[3:4], v[3:4], s[4:5]
	v_mul_f64 v[7:8], v[7:8], s[4:5]
	v_cvt_f32_f64_e32 v3, v[3:4]
	v_cvt_f32_f64_e32 v4, v[7:8]
	global_store_dwordx2 v[0:1], v[3:4], off
	global_load_dwordx2 v[3:4], v[116:117], off offset:1872
	v_add_co_u32 v0, vcc_lo, v0, s2
	v_add_co_ci_u32_e32 v1, vcc_lo, s3, v1, vcc_lo
	s_waitcnt vmcnt(0)
	v_mul_f32_e32 v7, v6, v4
	v_mul_f32_e32 v4, v5, v4
	v_fmac_f32_e32 v7, v5, v3
	v_fma_f32 v5, v3, v6, -v4
	v_cvt_f64_f32_e32 v[3:4], v7
	v_cvt_f64_f32_e32 v[5:6], v5
	v_mul_f64 v[3:4], v[3:4], s[4:5]
	v_mul_f64 v[5:6], v[5:6], s[4:5]
	v_cvt_f32_f64_e32 v3, v[3:4]
	v_cvt_f32_f64_e32 v4, v[5:6]
	global_store_dwordx2 v[0:1], v[3:4], off
	global_load_dwordx2 v[7:8], v[124:125], off offset:976
	v_add_nc_u32_e32 v3, 0xa00, v157
	v_add_co_u32 v0, vcc_lo, v0, s2
	v_add_co_ci_u32_e32 v1, vcc_lo, s3, v1, vcc_lo
	ds_read2_b64 v[3:6], v3 offset0:58 offset1:202
	s_waitcnt vmcnt(0) lgkmcnt(0)
	v_mul_f32_e32 v9, v4, v8
	v_mul_f32_e32 v8, v3, v8
	v_fmac_f32_e32 v9, v3, v7
	v_fma_f32 v7, v7, v4, -v8
	v_cvt_f64_f32_e32 v[3:4], v9
	v_cvt_f64_f32_e32 v[7:8], v7
	v_mul_f64 v[3:4], v[3:4], s[4:5]
	v_mul_f64 v[7:8], v[7:8], s[4:5]
	v_cvt_f32_f64_e32 v3, v[3:4]
	v_cvt_f32_f64_e32 v4, v[7:8]
	global_store_dwordx2 v[0:1], v[3:4], off
	global_load_dwordx2 v[3:4], v[120:121], off offset:80
	v_add_co_u32 v0, vcc_lo, v0, s2
	v_add_co_ci_u32_e32 v1, vcc_lo, s3, v1, vcc_lo
	s_waitcnt vmcnt(0)
	v_mul_f32_e32 v7, v6, v4
	v_mul_f32_e32 v4, v5, v4
	v_fmac_f32_e32 v7, v5, v3
	v_fma_f32 v5, v3, v6, -v4
	v_cvt_f64_f32_e32 v[3:4], v7
	v_cvt_f64_f32_e32 v[5:6], v5
	v_mul_f64 v[3:4], v[3:4], s[4:5]
	v_mul_f64 v[5:6], v[5:6], s[4:5]
	v_cvt_f32_f64_e32 v3, v[3:4]
	v_cvt_f32_f64_e32 v4, v[5:6]
	global_store_dwordx2 v[0:1], v[3:4], off
	global_load_dwordx2 v[7:8], v[120:121], off offset:1232
	v_add_nc_u32_e32 v3, 0x1400, v157
	v_add_co_u32 v0, vcc_lo, v0, s2
	v_add_co_ci_u32_e32 v1, vcc_lo, s3, v1, vcc_lo
	ds_read2_b64 v[3:6], v3 offset0:26 offset1:170
	;; [unrolled: 32-line block ×3, first 2 shown]
	s_waitcnt vmcnt(0) lgkmcnt(0)
	v_mul_f32_e32 v9, v4, v8
	v_mul_f32_e32 v8, v3, v8
	v_fmac_f32_e32 v9, v3, v7
	v_fma_f32 v7, v7, v4, -v8
	v_cvt_f64_f32_e32 v[3:4], v9
	v_cvt_f64_f32_e32 v[7:8], v7
	v_mul_f64 v[3:4], v[3:4], s[4:5]
	v_mul_f64 v[7:8], v[7:8], s[4:5]
	v_cvt_f32_f64_e32 v3, v[3:4]
	v_cvt_f32_f64_e32 v4, v[7:8]
	v_add_co_u32 v7, vcc_lo, 0x2000, v116
	v_add_co_ci_u32_e32 v8, vcc_lo, 0, v117, vcc_lo
	global_store_dwordx2 v[0:1], v[3:4], off
	global_load_dwordx2 v[3:4], v[7:8], off offset:592
	s_waitcnt vmcnt(0)
	v_mul_f32_e32 v9, v6, v4
	v_mul_f32_e32 v4, v5, v4
	v_fmac_f32_e32 v9, v5, v3
	v_fma_f32 v5, v3, v6, -v4
	v_cvt_f64_f32_e32 v[3:4], v9
	v_cvt_f64_f32_e32 v[5:6], v5
	v_mul_f64 v[3:4], v[3:4], s[4:5]
	v_mul_f64 v[5:6], v[5:6], s[4:5]
	v_cvt_f32_f64_e32 v3, v[3:4]
	v_cvt_f32_f64_e32 v4, v[5:6]
	v_add_co_u32 v5, vcc_lo, v0, s2
	v_add_co_ci_u32_e32 v6, vcc_lo, s3, v1, vcc_lo
	global_store_dwordx2 v[5:6], v[3:4], off
	global_load_dwordx2 v[7:8], v[7:8], off offset:1744
	ds_read2_b64 v[0:3], v2 offset0:90 offset1:234
	s_waitcnt vmcnt(0) lgkmcnt(0)
	v_mul_f32_e32 v4, v1, v8
	v_mul_f32_e32 v8, v0, v8
	v_fmac_f32_e32 v4, v0, v7
	v_fma_f32 v7, v7, v1, -v8
	v_cvt_f64_f32_e32 v[0:1], v4
	v_cvt_f64_f32_e32 v[7:8], v7
	v_add_co_u32 v4, vcc_lo, v5, s2
	v_add_co_ci_u32_e32 v5, vcc_lo, s3, v6, vcc_lo
	v_mul_f64 v[0:1], v[0:1], s[4:5]
	v_mul_f64 v[7:8], v[7:8], s[4:5]
	v_cvt_f32_f64_e32 v0, v[0:1]
	v_cvt_f32_f64_e32 v1, v[7:8]
	global_store_dwordx2 v[4:5], v[0:1], off
	global_load_dwordx2 v[0:1], v[118:119], off offset:848
	s_waitcnt vmcnt(0)
	v_mul_f32_e32 v6, v3, v1
	v_mul_f32_e32 v1, v2, v1
	v_fmac_f32_e32 v6, v2, v0
	v_fma_f32 v2, v0, v3, -v1
	v_cvt_f64_f32_e32 v[0:1], v6
	v_cvt_f64_f32_e32 v[2:3], v2
	v_mul_f64 v[0:1], v[0:1], s[4:5]
	v_mul_f64 v[2:3], v[2:3], s[4:5]
	v_cvt_f32_f64_e32 v0, v[0:1]
	v_cvt_f32_f64_e32 v1, v[2:3]
	v_add_co_u32 v2, vcc_lo, v4, s2
	v_add_co_ci_u32_e32 v3, vcc_lo, s3, v5, vcc_lo
	global_store_dwordx2 v[2:3], v[0:1], off
.LBB0_31:
	s_endpgm
	.section	.rodata,"a",@progbits
	.p2align	6, 0x0
	.amdhsa_kernel bluestein_single_back_len1440_dim1_sp_op_CI_CI
		.amdhsa_group_segment_fixed_size 11520
		.amdhsa_private_segment_fixed_size 0
		.amdhsa_kernarg_size 104
		.amdhsa_user_sgpr_count 6
		.amdhsa_user_sgpr_private_segment_buffer 1
		.amdhsa_user_sgpr_dispatch_ptr 0
		.amdhsa_user_sgpr_queue_ptr 0
		.amdhsa_user_sgpr_kernarg_segment_ptr 1
		.amdhsa_user_sgpr_dispatch_id 0
		.amdhsa_user_sgpr_flat_scratch_init 0
		.amdhsa_user_sgpr_private_segment_size 0
		.amdhsa_wavefront_size32 1
		.amdhsa_uses_dynamic_stack 0
		.amdhsa_system_sgpr_private_segment_wavefront_offset 0
		.amdhsa_system_sgpr_workgroup_id_x 1
		.amdhsa_system_sgpr_workgroup_id_y 0
		.amdhsa_system_sgpr_workgroup_id_z 0
		.amdhsa_system_sgpr_workgroup_info 0
		.amdhsa_system_vgpr_workitem_id 0
		.amdhsa_next_free_vgpr 198
		.amdhsa_next_free_sgpr 16
		.amdhsa_reserve_vcc 1
		.amdhsa_reserve_flat_scratch 0
		.amdhsa_float_round_mode_32 0
		.amdhsa_float_round_mode_16_64 0
		.amdhsa_float_denorm_mode_32 3
		.amdhsa_float_denorm_mode_16_64 3
		.amdhsa_dx10_clamp 1
		.amdhsa_ieee_mode 1
		.amdhsa_fp16_overflow 0
		.amdhsa_workgroup_processor_mode 1
		.amdhsa_memory_ordered 1
		.amdhsa_forward_progress 0
		.amdhsa_shared_vgpr_count 0
		.amdhsa_exception_fp_ieee_invalid_op 0
		.amdhsa_exception_fp_denorm_src 0
		.amdhsa_exception_fp_ieee_div_zero 0
		.amdhsa_exception_fp_ieee_overflow 0
		.amdhsa_exception_fp_ieee_underflow 0
		.amdhsa_exception_fp_ieee_inexact 0
		.amdhsa_exception_int_div_zero 0
	.end_amdhsa_kernel
	.text
.Lfunc_end0:
	.size	bluestein_single_back_len1440_dim1_sp_op_CI_CI, .Lfunc_end0-bluestein_single_back_len1440_dim1_sp_op_CI_CI
                                        ; -- End function
	.section	.AMDGPU.csdata,"",@progbits
; Kernel info:
; codeLenInByte = 16908
; NumSgprs: 18
; NumVgprs: 198
; ScratchSize: 0
; MemoryBound: 0
; FloatMode: 240
; IeeeMode: 1
; LDSByteSize: 11520 bytes/workgroup (compile time only)
; SGPRBlocks: 2
; VGPRBlocks: 24
; NumSGPRsForWavesPerEU: 18
; NumVGPRsForWavesPerEU: 198
; Occupancy: 4
; WaveLimiterHint : 1
; COMPUTE_PGM_RSRC2:SCRATCH_EN: 0
; COMPUTE_PGM_RSRC2:USER_SGPR: 6
; COMPUTE_PGM_RSRC2:TRAP_HANDLER: 0
; COMPUTE_PGM_RSRC2:TGID_X_EN: 1
; COMPUTE_PGM_RSRC2:TGID_Y_EN: 0
; COMPUTE_PGM_RSRC2:TGID_Z_EN: 0
; COMPUTE_PGM_RSRC2:TIDIG_COMP_CNT: 0
	.text
	.p2alignl 6, 3214868480
	.fill 48, 4, 3214868480
	.type	__hip_cuid_c27ba7b1a9efe1cd,@object ; @__hip_cuid_c27ba7b1a9efe1cd
	.section	.bss,"aw",@nobits
	.globl	__hip_cuid_c27ba7b1a9efe1cd
__hip_cuid_c27ba7b1a9efe1cd:
	.byte	0                               ; 0x0
	.size	__hip_cuid_c27ba7b1a9efe1cd, 1

	.ident	"AMD clang version 19.0.0git (https://github.com/RadeonOpenCompute/llvm-project roc-6.4.0 25133 c7fe45cf4b819c5991fe208aaa96edf142730f1d)"
	.section	".note.GNU-stack","",@progbits
	.addrsig
	.addrsig_sym __hip_cuid_c27ba7b1a9efe1cd
	.amdgpu_metadata
---
amdhsa.kernels:
  - .args:
      - .actual_access:  read_only
        .address_space:  global
        .offset:         0
        .size:           8
        .value_kind:     global_buffer
      - .actual_access:  read_only
        .address_space:  global
        .offset:         8
        .size:           8
        .value_kind:     global_buffer
      - .actual_access:  read_only
        .address_space:  global
        .offset:         16
        .size:           8
        .value_kind:     global_buffer
      - .actual_access:  read_only
        .address_space:  global
        .offset:         24
        .size:           8
        .value_kind:     global_buffer
      - .actual_access:  read_only
        .address_space:  global
        .offset:         32
        .size:           8
        .value_kind:     global_buffer
      - .offset:         40
        .size:           8
        .value_kind:     by_value
      - .address_space:  global
        .offset:         48
        .size:           8
        .value_kind:     global_buffer
      - .address_space:  global
        .offset:         56
        .size:           8
        .value_kind:     global_buffer
      - .address_space:  global
        .offset:         64
        .size:           8
        .value_kind:     global_buffer
      - .address_space:  global
        .offset:         72
        .size:           8
        .value_kind:     global_buffer
      - .offset:         80
        .size:           4
        .value_kind:     by_value
      - .address_space:  global
        .offset:         88
        .size:           8
        .value_kind:     global_buffer
      - .address_space:  global
        .offset:         96
        .size:           8
        .value_kind:     global_buffer
    .group_segment_fixed_size: 11520
    .kernarg_segment_align: 8
    .kernarg_segment_size: 104
    .language:       OpenCL C
    .language_version:
      - 2
      - 0
    .max_flat_workgroup_size: 90
    .name:           bluestein_single_back_len1440_dim1_sp_op_CI_CI
    .private_segment_fixed_size: 0
    .sgpr_count:     18
    .sgpr_spill_count: 0
    .symbol:         bluestein_single_back_len1440_dim1_sp_op_CI_CI.kd
    .uniform_work_group_size: 1
    .uses_dynamic_stack: false
    .vgpr_count:     198
    .vgpr_spill_count: 0
    .wavefront_size: 32
    .workgroup_processor_mode: 1
amdhsa.target:   amdgcn-amd-amdhsa--gfx1030
amdhsa.version:
  - 1
  - 2
...

	.end_amdgpu_metadata
